;; amdgpu-corpus repo=ROCm/rocFFT kind=compiled arch=gfx906 opt=O3
	.text
	.amdgcn_target "amdgcn-amd-amdhsa--gfx906"
	.amdhsa_code_object_version 6
	.protected	bluestein_single_fwd_len208_dim1_dp_op_CI_CI ; -- Begin function bluestein_single_fwd_len208_dim1_dp_op_CI_CI
	.globl	bluestein_single_fwd_len208_dim1_dp_op_CI_CI
	.p2align	8
	.type	bluestein_single_fwd_len208_dim1_dp_op_CI_CI,@function
bluestein_single_fwd_len208_dim1_dp_op_CI_CI: ; @bluestein_single_fwd_len208_dim1_dp_op_CI_CI
; %bb.0:
	s_load_dwordx4 s[16:19], s[4:5], 0x28
	v_lshrrev_b32_e32 v52, 4, v0
	v_lshl_or_b32 v176, s6, 2, v52
	v_mov_b32_e32 v177, 0
	s_waitcnt lgkmcnt(0)
	v_cmp_gt_u64_e32 vcc, s[16:17], v[176:177]
	s_and_saveexec_b64 s[0:1], vcc
	s_cbranch_execz .LBB0_10
; %bb.1:
	s_load_dwordx4 s[0:3], s[4:5], 0x18
	s_load_dwordx4 s[12:15], s[4:5], 0x0
	v_and_b32_e32 v199, 15, v0
	v_lshlrev_b32_e32 v202, 4, v199
	v_mul_u32_u24_e32 v68, 0xd0, v52
	s_waitcnt lgkmcnt(0)
	s_load_dwordx4 s[8:11], s[0:1], 0x0
	v_lshl_or_b32 v200, v68, 4, v202
	s_mov_b32 s6, 0xe00740e9
	s_mov_b32 s7, 0x3fec55a7
	;; [unrolled: 1-line block ×3, first 2 shown]
	s_waitcnt lgkmcnt(0)
	v_mad_u64_u32 v[0:1], s[0:1], s10, v176, 0
	v_mad_u64_u32 v[2:3], s[0:1], s8, v199, 0
	s_mov_b32 s36, 0x66966769
	s_mov_b32 s20, 0x2ef20147
	v_mad_u64_u32 v[4:5], s[0:1], s11, v176, v[1:2]
	s_mov_b32 s24, 0x24c2f84
	s_mov_b32 s34, 0x4bc48dbf
	v_mad_u64_u32 v[5:6], s[0:1], s9, v199, v[3:4]
	v_mov_b32_e32 v1, v4
	v_lshlrev_b64 v[0:1], 4, v[0:1]
	v_mov_b32_e32 v3, v5
	v_mov_b32_e32 v6, s19
	v_lshlrev_b64 v[2:3], 4, v[2:3]
	v_add_co_u32_e32 v0, vcc, s18, v0
	v_addc_co_u32_e32 v1, vcc, v6, v1, vcc
	v_add_co_u32_e32 v0, vcc, v0, v2
	v_addc_co_u32_e32 v1, vcc, v1, v3, vcc
	global_load_dwordx4 v[53:56], v[0:1], off
	s_lshl_b64 s[0:1], s[8:9], 8
	v_mov_b32_e32 v18, s1
	v_add_co_u32_e32 v0, vcc, s0, v0
	global_load_dwordx4 v[48:51], v202, s[12:13]
	global_load_dwordx4 v[24:27], v202, s[12:13] offset:256
	v_addc_co_u32_e32 v1, vcc, v1, v18, vcc
	v_add_co_u32_e32 v2, vcc, s0, v0
	v_addc_co_u32_e32 v3, vcc, v1, v18, vcc
	global_load_dwordx4 v[57:60], v[0:1], off
	global_load_dwordx4 v[61:64], v[2:3], off
	v_add_co_u32_e32 v0, vcc, s0, v2
	v_addc_co_u32_e32 v1, vcc, v3, v18, vcc
	v_add_co_u32_e32 v2, vcc, s0, v0
	v_addc_co_u32_e32 v3, vcc, v1, v18, vcc
	global_load_dwordx4 v[40:43], v202, s[12:13] offset:512
	global_load_dwordx4 v[28:31], v202, s[12:13] offset:768
	global_load_dwordx4 v[69:72], v[0:1], off
	global_load_dwordx4 v[73:76], v[2:3], off
	v_add_co_u32_e32 v0, vcc, s0, v2
	v_addc_co_u32_e32 v1, vcc, v3, v18, vcc
	global_load_dwordx4 v[77:80], v[0:1], off
	global_load_dwordx4 v[44:47], v202, s[12:13] offset:1024
	global_load_dwordx4 v[20:23], v202, s[12:13] offset:1280
	v_add_co_u32_e32 v0, vcc, s0, v0
	v_addc_co_u32_e32 v1, vcc, v1, v18, vcc
	global_load_dwordx4 v[81:84], v[0:1], off
	v_add_co_u32_e32 v0, vcc, s0, v0
	v_addc_co_u32_e32 v1, vcc, v1, v18, vcc
	global_load_dwordx4 v[85:88], v[0:1], off
	global_load_dwordx4 v[36:39], v202, s[12:13] offset:1536
	global_load_dwordx4 v[12:15], v202, s[12:13] offset:1792
	v_add_co_u32_e32 v0, vcc, s0, v0
	v_addc_co_u32_e32 v1, vcc, v1, v18, vcc
	;; [unrolled: 8-line block ×3, first 2 shown]
	v_add_co_u32_e32 v16, vcc, s0, v0
	global_load_dwordx4 v[97:100], v[0:1], off
	v_addc_co_u32_e32 v17, vcc, v1, v18, vcc
	global_load_dwordx4 v[101:104], v[16:17], off
	global_load_dwordx4 v[8:11], v202, s[12:13] offset:2560
	global_load_dwordx4 v[0:3], v202, s[12:13] offset:2816
	v_add_co_u32_e32 v65, vcc, s0, v16
	v_addc_co_u32_e32 v66, vcc, v17, v18, vcc
	global_load_dwordx4 v[16:19], v202, s[12:13] offset:3072
	global_load_dwordx4 v[105:108], v[65:66], off
	s_load_dwordx4 s[8:11], s[2:3], 0x0
	s_mov_b32 s19, 0xbfddbe06
	s_mov_b32 s18, 0x4267c47c
	;; [unrolled: 1-line block ×7, first 2 shown]
	s_load_dwordx2 s[2:3], s[4:5], 0x38
	s_mov_b32 s4, 0x1ea71119
	s_mov_b32 s0, 0xebaa3ed8
	;; [unrolled: 1-line block ×12, first 2 shown]
	s_waitcnt vmcnt(24)
	v_mul_f64 v[65:66], v[55:56], v[50:51]
	v_mul_f64 v[109:110], v[53:54], v[50:51]
	s_mov_b32 s29, 0x3fefc445
	s_mov_b32 s28, s36
	;; [unrolled: 1-line block ×4, first 2 shown]
	v_add_co_u32_e32 v177, vcc, s12, v202
	s_waitcnt vmcnt(22)
	v_mul_f64 v[111:112], v[59:60], v[26:27]
	v_mul_f64 v[113:114], v[57:58], v[26:27]
	v_fma_f64 v[52:53], v[53:54], v[48:49], v[65:66]
	v_fma_f64 v[54:55], v[55:56], v[48:49], -v[109:110]
                                        ; implicit-def: $vgpr172_vgpr173
                                        ; implicit-def: $vgpr168_vgpr169
	s_waitcnt vmcnt(20)
	v_mul_f64 v[115:116], v[63:64], v[42:43]
	v_mul_f64 v[65:66], v[61:62], v[42:43]
	s_waitcnt vmcnt(18)
	v_mul_f64 v[109:110], v[71:72], v[30:31]
	v_mul_f64 v[117:118], v[69:70], v[30:31]
	v_fma_f64 v[56:57], v[57:58], v[24:25], v[111:112]
	v_fma_f64 v[58:59], v[59:60], v[24:25], -v[113:114]
	s_waitcnt vmcnt(15)
	v_mul_f64 v[119:120], v[75:76], v[46:47]
	v_mul_f64 v[121:122], v[73:74], v[46:47]
	v_fma_f64 v[60:61], v[61:62], v[40:41], v[115:116]
	v_fma_f64 v[62:63], v[63:64], v[40:41], -v[65:66]
	v_fma_f64 v[64:65], v[69:70], v[28:29], v[109:110]
	v_fma_f64 v[66:67], v[71:72], v[28:29], -v[117:118]
	v_mov_b32_e32 v111, s13
	v_addc_co_u32_e32 v178, vcc, 0, v111, vcc
	v_fma_f64 v[69:70], v[73:74], v[44:45], v[119:120]
	v_fma_f64 v[71:72], v[75:76], v[44:45], -v[121:122]
	v_or_b32_e32 v73, v68, v199
	v_lshlrev_b32_e32 v201, 4, v73
	ds_write_b128 v201, v[52:55]
	s_waitcnt vmcnt(14)
	v_mul_f64 v[52:53], v[79:80], v[22:23]
	v_mul_f64 v[54:55], v[77:78], v[22:23]
	ds_write_b128 v200, v[56:59] offset:256
	ds_write_b128 v200, v[60:63] offset:512
	;; [unrolled: 1-line block ×4, first 2 shown]
	s_waitcnt vmcnt(11)
	v_mul_f64 v[56:57], v[83:84], v[38:39]
	v_mul_f64 v[58:59], v[81:82], v[38:39]
	s_waitcnt vmcnt(10)
	v_mul_f64 v[60:61], v[87:88], v[14:15]
	v_mul_f64 v[62:63], v[85:86], v[14:15]
	;; [unrolled: 3-line block ×4, first 2 shown]
	v_fma_f64 v[52:53], v[77:78], v[20:21], v[52:53]
	v_fma_f64 v[54:55], v[79:80], v[20:21], -v[54:55]
	v_fma_f64 v[56:57], v[81:82], v[36:37], v[56:57]
	v_fma_f64 v[58:59], v[83:84], v[36:37], -v[58:59]
	v_fma_f64 v[60:61], v[85:86], v[12:13], v[60:61]
	s_waitcnt vmcnt(3)
	v_mul_f64 v[73:74], v[99:100], v[10:11]
	v_mul_f64 v[75:76], v[97:98], v[10:11]
	s_waitcnt vmcnt(2)
	v_mul_f64 v[77:78], v[103:104], v[2:3]
	v_mul_f64 v[79:80], v[101:102], v[2:3]
	v_fma_f64 v[62:63], v[87:88], v[12:13], -v[62:63]
	v_fma_f64 v[64:65], v[89:90], v[32:33], v[64:65]
	s_waitcnt vmcnt(0)
	v_mul_f64 v[81:82], v[107:108], v[18:19]
	v_mul_f64 v[83:84], v[105:106], v[18:19]
	v_fma_f64 v[66:67], v[91:92], v[32:33], -v[66:67]
	v_fma_f64 v[69:70], v[93:94], v[4:5], v[69:70]
	v_fma_f64 v[71:72], v[95:96], v[4:5], -v[71:72]
	v_fma_f64 v[73:74], v[97:98], v[8:9], v[73:74]
	;; [unrolled: 2-line block ×4, first 2 shown]
	v_fma_f64 v[83:84], v[107:108], v[16:17], -v[83:84]
	ds_write_b128 v200, v[52:55] offset:1280
	ds_write_b128 v200, v[56:59] offset:1536
	;; [unrolled: 1-line block ×8, first 2 shown]
	s_waitcnt lgkmcnt(0)
	; wave barrier
	s_waitcnt lgkmcnt(0)
	ds_read_b128 v[69:72], v201
	ds_read_b128 v[73:76], v200 offset:256
	ds_read_b128 v[77:80], v200 offset:512
	;; [unrolled: 1-line block ×5, first 2 shown]
	v_cmp_gt_u32_e32 vcc, 13, v199
	s_waitcnt lgkmcnt(4)
	v_add_f64 v[52:53], v[69:70], v[73:74]
	v_add_f64 v[54:55], v[71:72], v[75:76]
	s_waitcnt lgkmcnt(3)
	v_add_f64 v[52:53], v[52:53], v[77:78]
	v_add_f64 v[54:55], v[54:55], v[79:80]
	;; [unrolled: 3-line block ×5, first 2 shown]
	ds_read_b128 v[52:55], v200 offset:1536
	ds_read_b128 v[56:59], v200 offset:1792
	s_waitcnt lgkmcnt(1)
	v_add_f64 v[64:65], v[64:65], v[52:53]
	v_add_f64 v[66:67], v[66:67], v[54:55]
	s_waitcnt lgkmcnt(0)
	v_add_f64 v[93:94], v[64:65], v[56:57]
	v_add_f64 v[95:96], v[66:67], v[58:59]
	ds_read_b128 v[64:67], v200 offset:2048
	ds_read_b128 v[89:92], v200 offset:2304
	s_waitcnt lgkmcnt(1)
	v_add_f64 v[97:98], v[93:94], v[64:65]
	v_add_f64 v[99:100], v[95:96], v[66:67]
	ds_read_b128 v[93:96], v200 offset:3072
	s_waitcnt lgkmcnt(0)
	v_add_f64 v[109:110], v[75:76], -v[95:96]
	v_add_f64 v[105:106], v[97:98], v[89:90]
	v_add_f64 v[107:108], v[99:100], v[91:92]
	v_add_f64 v[116:117], v[73:74], -v[93:94]
	ds_read_b128 v[97:100], v200 offset:2560
	ds_read_b128 v[101:104], v200 offset:2816
	v_add_f64 v[73:74], v[73:74], v[93:94]
	v_add_f64 v[75:76], v[75:76], v[95:96]
	s_waitcnt lgkmcnt(0)
	v_mul_f64 v[118:119], v[109:110], s[18:19]
	v_add_f64 v[105:106], v[105:106], v[97:98]
	v_add_f64 v[107:108], v[107:108], v[99:100]
	v_mul_f64 v[120:121], v[116:117], s[18:19]
	v_mul_f64 v[134:135], v[109:110], s[20:21]
	;; [unrolled: 1-line block ×5, first 2 shown]
	v_fma_f64 v[122:123], v[73:74], s[6:7], -v[118:119]
	v_add_f64 v[105:106], v[105:106], v[101:102]
	v_add_f64 v[107:108], v[107:108], v[103:104]
	v_fma_f64 v[124:125], v[75:76], s[6:7], v[120:121]
	v_add_f64 v[150:151], v[79:80], -v[103:104]
	v_add_f64 v[152:153], v[77:78], -v[101:102]
	v_fma_f64 v[142:143], v[73:74], s[16:17], -v[134:135]
	v_fma_f64 v[144:145], v[75:76], s[16:17], v[136:137]
	v_fma_f64 v[134:135], v[73:74], s[16:17], v[134:135]
	v_add_f64 v[112:113], v[105:106], v[93:94]
	v_add_f64 v[114:115], v[107:108], v[95:96]
	;; [unrolled: 1-line block ×4, first 2 shown]
	v_fma_f64 v[105:106], v[73:74], s[6:7], v[118:119]
	v_fma_f64 v[107:108], v[75:76], s[6:7], -v[120:121]
	v_mul_f64 v[118:119], v[109:110], s[26:27]
	v_mul_f64 v[120:121], v[116:117], s[26:27]
	;; [unrolled: 1-line block ×6, first 2 shown]
	v_fma_f64 v[136:137], v[75:76], s[16:17], -v[136:137]
	v_fma_f64 v[146:147], v[73:74], s[22:23], -v[138:139]
	;; [unrolled: 1-line block ×3, first 2 shown]
	v_fma_f64 v[128:129], v[75:76], s[4:5], v[120:121]
	v_fma_f64 v[118:119], v[73:74], s[4:5], v[118:119]
	v_fma_f64 v[120:121], v[75:76], s[4:5], -v[120:121]
	v_fma_f64 v[130:131], v[73:74], s[0:1], -v[122:123]
	v_fma_f64 v[132:133], v[75:76], s[0:1], v[124:125]
	v_fma_f64 v[122:123], v[73:74], s[0:1], v[122:123]
	v_fma_f64 v[124:125], v[75:76], s[0:1], -v[124:125]
	v_fma_f64 v[148:149], v[75:76], s[22:23], v[140:141]
	v_fma_f64 v[138:139], v[73:74], s[22:23], v[138:139]
	v_fma_f64 v[140:141], v[75:76], s[22:23], -v[140:141]
	v_add_f64 v[77:78], v[77:78], v[101:102]
	v_add_f64 v[79:80], v[79:80], v[103:104]
	v_mul_f64 v[101:102], v[150:151], s[26:27]
	v_mul_f64 v[103:104], v[152:153], s[26:27]
	v_fma_f64 v[154:155], v[73:74], s[30:31], -v[109:110]
	v_fma_f64 v[156:157], v[75:76], s[30:31], v[116:117]
	v_fma_f64 v[73:74], v[73:74], s[30:31], v[109:110]
	v_fma_f64 v[75:76], v[75:76], s[30:31], -v[116:117]
	v_add_f64 v[105:106], v[69:70], v[105:106]
	v_add_f64 v[107:108], v[71:72], v[107:108]
	;; [unrolled: 1-line block ×18, first 2 shown]
	v_fma_f64 v[138:139], v[77:78], s[4:5], -v[101:102]
	v_fma_f64 v[140:141], v[79:80], s[4:5], v[103:104]
	v_add_f64 v[154:155], v[69:70], v[154:155]
	v_add_f64 v[156:157], v[71:72], v[156:157]
	;; [unrolled: 1-line block ×4, first 2 shown]
	v_mul_f64 v[73:74], v[150:151], s[20:21]
	v_mul_f64 v[75:76], v[152:153], s[20:21]
	v_add_f64 v[93:94], v[138:139], v[93:94]
	v_add_f64 v[95:96], v[140:141], v[95:96]
	v_mul_f64 v[138:139], v[150:151], s[34:35]
	v_mul_f64 v[140:141], v[152:153], s[34:35]
	v_fma_f64 v[101:102], v[77:78], s[4:5], v[101:102]
	v_fma_f64 v[103:104], v[79:80], s[4:5], -v[103:104]
	v_fma_f64 v[158:159], v[77:78], s[16:17], -v[73:74]
	v_fma_f64 v[160:161], v[79:80], s[16:17], v[75:76]
	v_fma_f64 v[73:74], v[77:78], s[16:17], v[73:74]
	v_fma_f64 v[75:76], v[79:80], s[16:17], -v[75:76]
	v_fma_f64 v[162:163], v[77:78], s[30:31], -v[138:139]
	v_fma_f64 v[164:165], v[79:80], s[30:31], v[140:141]
	v_add_f64 v[101:102], v[101:102], v[105:106]
	v_add_f64 v[103:104], v[103:104], v[107:108]
	;; [unrolled: 1-line block ×4, first 2 shown]
	v_mul_f64 v[126:127], v[150:151], s[38:39]
	v_mul_f64 v[128:129], v[152:153], s[38:39]
	v_add_f64 v[73:74], v[73:74], v[118:119]
	v_add_f64 v[75:76], v[75:76], v[120:121]
	;; [unrolled: 1-line block ×4, first 2 shown]
	v_mul_f64 v[130:131], v[150:151], s[28:29]
	v_fma_f64 v[132:133], v[77:78], s[30:31], v[138:139]
	v_fma_f64 v[138:139], v[79:80], s[30:31], -v[140:141]
	v_mul_f64 v[140:141], v[152:153], s[28:29]
	v_fma_f64 v[158:159], v[77:78], s[22:23], -v[126:127]
	v_fma_f64 v[160:161], v[79:80], s[22:23], v[128:129]
	v_fma_f64 v[128:129], v[79:80], s[22:23], -v[128:129]
	v_fma_f64 v[126:127], v[77:78], s[22:23], v[126:127]
	v_fma_f64 v[162:163], v[77:78], s[0:1], -v[130:131]
	v_add_f64 v[122:123], v[132:133], v[122:123]
	v_add_f64 v[124:125], v[138:139], v[124:125]
	v_fma_f64 v[132:133], v[79:80], s[0:1], v[140:141]
	v_add_f64 v[138:139], v[158:159], v[142:143]
	v_add_f64 v[142:143], v[160:161], v[144:145]
	;; [unrolled: 1-line block ×3, first 2 shown]
	v_add_f64 v[136:137], v[83:84], -v[99:100]
	v_add_f64 v[144:145], v[81:82], -v[97:98]
	s_mov_b32 s19, 0x3fddbe06
	v_add_f64 v[126:127], v[126:127], v[134:135]
	v_add_f64 v[134:135], v[162:163], v[146:147]
	;; [unrolled: 1-line block ×3, first 2 shown]
	v_mul_f64 v[146:147], v[150:151], s[18:19]
	v_mul_f64 v[148:149], v[152:153], s[18:19]
	v_add_f64 v[81:82], v[81:82], v[97:98]
	v_add_f64 v[83:84], v[83:84], v[99:100]
	v_mul_f64 v[97:98], v[136:137], s[36:37]
	v_mul_f64 v[99:100], v[144:145], s[36:37]
	v_fma_f64 v[130:131], v[77:78], s[0:1], v[130:131]
	v_fma_f64 v[140:141], v[79:80], s[0:1], -v[140:141]
	v_fma_f64 v[150:151], v[77:78], s[6:7], -v[146:147]
	v_fma_f64 v[152:153], v[79:80], s[6:7], v[148:149]
	v_fma_f64 v[77:78], v[77:78], s[6:7], v[146:147]
	v_fma_f64 v[79:80], v[79:80], s[6:7], -v[148:149]
	v_fma_f64 v[146:147], v[81:82], s[0:1], -v[97:98]
	v_fma_f64 v[148:149], v[83:84], s[0:1], v[99:100]
	v_fma_f64 v[99:100], v[83:84], s[0:1], -v[99:100]
	v_add_f64 v[109:110], v[130:131], v[109:110]
	v_add_f64 v[130:131], v[150:151], v[154:155]
	v_fma_f64 v[97:98], v[81:82], s[0:1], v[97:98]
	v_add_f64 v[69:70], v[77:78], v[69:70]
	v_add_f64 v[71:72], v[79:80], v[71:72]
	;; [unrolled: 1-line block ×4, first 2 shown]
	v_mul_f64 v[93:94], v[136:137], s[34:35]
	v_mul_f64 v[148:149], v[144:145], s[40:41]
	;; [unrolled: 1-line block ×3, first 2 shown]
	v_add_f64 v[99:100], v[99:100], v[103:104]
	v_mul_f64 v[95:96], v[144:145], s[34:35]
	v_add_f64 v[97:98], v[97:98], v[101:102]
	v_add_f64 v[116:117], v[140:141], v[116:117]
	v_add_f64 v[140:141], v[152:153], v[156:157]
	v_fma_f64 v[150:151], v[81:82], s[30:31], -v[93:94]
	v_fma_f64 v[93:94], v[81:82], s[30:31], v[93:94]
	v_fma_f64 v[103:104], v[83:84], s[16:17], v[148:149]
	v_fma_f64 v[101:102], v[81:82], s[16:17], -v[146:147]
	v_fma_f64 v[152:153], v[83:84], s[30:31], v[95:96]
	v_fma_f64 v[95:96], v[83:84], s[30:31], -v[95:96]
	; wave barrier
	s_waitcnt lgkmcnt(0)
                                        ; implicit-def: $vgpr164_vgpr165
	v_add_f64 v[105:106], v[150:151], v[105:106]
	v_add_f64 v[73:74], v[93:94], v[73:74]
	v_mul_f64 v[93:94], v[136:137], s[18:19]
	v_add_f64 v[103:104], v[103:104], v[120:121]
	v_fma_f64 v[120:121], v[83:84], s[16:17], -v[148:149]
	v_mul_f64 v[148:149], v[144:145], s[26:27]
	v_add_f64 v[101:102], v[101:102], v[118:119]
	v_fma_f64 v[118:119], v[81:82], s[16:17], v[146:147]
	v_mul_f64 v[146:147], v[136:137], s[26:27]
	v_add_f64 v[75:76], v[95:96], v[75:76]
	v_fma_f64 v[150:151], v[81:82], s[6:7], -v[93:94]
	v_fma_f64 v[93:94], v[81:82], s[6:7], v[93:94]
	v_add_f64 v[120:121], v[120:121], v[124:125]
	v_fma_f64 v[124:125], v[83:84], s[4:5], v[148:149]
	v_mul_f64 v[95:96], v[144:145], s[18:19]
	v_add_f64 v[118:119], v[118:119], v[122:123]
	v_fma_f64 v[122:123], v[81:82], s[4:5], -v[146:147]
	v_add_f64 v[107:108], v[152:153], v[107:108]
	v_add_f64 v[138:139], v[150:151], v[138:139]
	;; [unrolled: 1-line block ×3, first 2 shown]
	v_mul_f64 v[126:127], v[136:137], s[24:25]
	v_add_f64 v[124:125], v[124:125], v[132:133]
	v_add_f64 v[132:133], v[87:88], -v[91:92]
	v_fma_f64 v[152:153], v[83:84], s[6:7], v[95:96]
	v_fma_f64 v[95:96], v[83:84], s[6:7], -v[95:96]
	v_add_f64 v[122:123], v[122:123], v[134:135]
	v_add_f64 v[134:135], v[85:86], -v[89:90]
	v_fma_f64 v[136:137], v[81:82], s[4:5], v[146:147]
	v_fma_f64 v[146:147], v[81:82], s[22:23], -v[126:127]
	v_add_f64 v[85:86], v[85:86], v[89:90]
	v_mul_f64 v[89:90], v[132:133], s[20:21]
	v_add_f64 v[87:88], v[87:88], v[91:92]
	v_add_f64 v[95:96], v[95:96], v[128:129]
	v_mul_f64 v[128:129], v[144:145], s[24:25]
	v_mul_f64 v[91:92], v[134:135], s[20:21]
	v_fma_f64 v[81:82], v[81:82], s[22:23], v[126:127]
	v_add_f64 v[126:127], v[146:147], v[130:131]
	v_fma_f64 v[144:145], v[83:84], s[4:5], -v[148:149]
	v_fma_f64 v[130:131], v[85:86], s[16:17], -v[89:90]
	v_add_f64 v[109:110], v[136:137], v[109:110]
	v_fma_f64 v[89:90], v[85:86], s[16:17], v[89:90]
	v_fma_f64 v[148:149], v[83:84], s[22:23], v[128:129]
	v_fma_f64 v[83:84], v[83:84], s[22:23], -v[128:129]
	v_fma_f64 v[136:137], v[87:88], s[16:17], v[91:92]
	v_add_f64 v[69:70], v[81:82], v[69:70]
	v_mul_f64 v[81:82], v[132:133], s[38:39]
	v_add_f64 v[77:78], v[130:131], v[77:78]
	v_mul_f64 v[130:131], v[132:133], s[18:19]
	v_fma_f64 v[91:92], v[87:88], s[16:17], -v[91:92]
	v_add_f64 v[128:129], v[148:149], v[140:141]
	v_add_f64 v[71:72], v[83:84], v[71:72]
	v_mul_f64 v[83:84], v[134:135], s[38:39]
	v_add_f64 v[79:80], v[136:137], v[79:80]
	v_mul_f64 v[136:137], v[134:135], s[18:19]
	v_fma_f64 v[140:141], v[85:86], s[22:23], -v[81:82]
	v_add_f64 v[89:90], v[89:90], v[97:98]
	v_fma_f64 v[81:82], v[85:86], s[22:23], v[81:82]
	v_fma_f64 v[97:98], v[85:86], s[6:7], -v[130:131]
	s_mov_b32 s39, 0x3fcea1e5
	s_mov_b32 s38, s34
	v_add_f64 v[116:117], v[144:145], v[116:117]
	v_fma_f64 v[144:145], v[87:88], s[22:23], v[83:84]
	v_add_f64 v[91:92], v[91:92], v[99:100]
	v_fma_f64 v[83:84], v[87:88], s[22:23], -v[83:84]
	v_fma_f64 v[99:100], v[87:88], s[6:7], v[136:137]
	v_add_f64 v[73:74], v[81:82], v[73:74]
	v_add_f64 v[81:82], v[97:98], v[101:102]
	v_fma_f64 v[97:98], v[85:86], s[6:7], v[130:131]
	v_mul_f64 v[130:131], v[132:133], s[38:39]
	v_add_f64 v[105:106], v[140:141], v[105:106]
	v_mul_f64 v[140:141], v[132:133], s[36:37]
	v_add_f64 v[75:76], v[83:84], v[75:76]
	v_add_f64 v[83:84], v[99:100], v[103:104]
	v_fma_f64 v[99:100], v[87:88], s[6:7], -v[136:137]
	v_mul_f64 v[136:137], v[134:135], s[38:39]
	v_add_f64 v[97:98], v[97:98], v[118:119]
	v_fma_f64 v[118:119], v[85:86], s[30:31], -v[130:131]
	v_add_f64 v[107:108], v[144:145], v[107:108]
	v_mul_f64 v[144:145], v[134:135], s[36:37]
	s_mov_b32 s37, 0x3fea55e2
	s_mov_b32 s36, s26
	v_fma_f64 v[101:102], v[85:86], s[0:1], -v[140:141]
	v_add_f64 v[99:100], v[99:100], v[120:121]
	v_fma_f64 v[120:121], v[87:88], s[30:31], v[136:137]
	v_mul_f64 v[132:133], v[132:133], s[36:37]
	v_add_f64 v[118:119], v[118:119], v[122:123]
	v_add_f64 v[122:123], v[62:63], -v[66:67]
	v_fma_f64 v[140:141], v[85:86], s[0:1], v[140:141]
	v_mul_f64 v[134:135], v[134:135], s[36:37]
	v_add_f64 v[101:102], v[101:102], v[138:139]
	v_fma_f64 v[130:131], v[85:86], s[30:31], v[130:131]
	v_add_f64 v[120:121], v[120:121], v[124:125]
	v_add_f64 v[124:125], v[60:61], -v[64:65]
	v_fma_f64 v[138:139], v[85:86], s[4:5], -v[132:133]
	v_add_f64 v[60:61], v[60:61], v[64:65]
	v_mul_f64 v[64:65], v[122:123], s[24:25]
	v_fma_f64 v[85:86], v[85:86], s[4:5], v[132:133]
	v_fma_f64 v[103:104], v[87:88], s[0:1], v[144:145]
	v_fma_f64 v[144:145], v[87:88], s[0:1], -v[144:145]
	v_add_f64 v[93:94], v[140:141], v[93:94]
	v_fma_f64 v[136:137], v[87:88], s[30:31], -v[136:137]
	v_fma_f64 v[140:141], v[87:88], s[4:5], v[134:135]
	v_add_f64 v[62:63], v[62:63], v[66:67]
	v_mul_f64 v[66:67], v[124:125], s[24:25]
	v_fma_f64 v[87:88], v[87:88], s[4:5], -v[134:135]
	v_add_f64 v[109:110], v[130:131], v[109:110]
	v_fma_f64 v[130:131], v[60:61], s[22:23], -v[64:65]
	v_add_f64 v[69:70], v[85:86], v[69:70]
	v_mul_f64 v[85:86], v[122:123], s[28:29]
	v_fma_f64 v[64:65], v[60:61], s[22:23], v[64:65]
	v_add_f64 v[116:117], v[136:137], v[116:117]
	v_fma_f64 v[132:133], v[62:63], s[22:23], v[66:67]
	v_add_f64 v[71:72], v[87:88], v[71:72]
	v_mul_f64 v[87:88], v[124:125], s[28:29]
	v_add_f64 v[77:78], v[130:131], v[77:78]
	v_mul_f64 v[130:131], v[122:123], s[26:27]
	v_fma_f64 v[134:135], v[60:61], s[0:1], -v[85:86]
	v_fma_f64 v[66:67], v[62:63], s[22:23], -v[66:67]
	v_add_f64 v[64:65], v[64:65], v[89:90]
	v_add_f64 v[79:80], v[132:133], v[79:80]
	v_mul_f64 v[132:133], v[124:125], s[26:27]
	v_fma_f64 v[136:137], v[62:63], s[0:1], v[87:88]
	v_fma_f64 v[85:86], v[60:61], s[0:1], v[85:86]
	v_fma_f64 v[89:90], v[60:61], s[4:5], -v[130:131]
	v_add_f64 v[105:106], v[134:135], v[105:106]
	v_mul_f64 v[134:135], v[122:123], s[38:39]
	v_add_f64 v[142:143], v[152:153], v[142:143]
	v_add_f64 v[66:67], v[66:67], v[91:92]
	v_fma_f64 v[87:88], v[62:63], s[0:1], -v[87:88]
	v_fma_f64 v[91:92], v[62:63], s[4:5], v[132:133]
	v_add_f64 v[107:108], v[136:137], v[107:108]
	v_mul_f64 v[136:137], v[124:125], s[38:39]
	v_add_f64 v[73:74], v[85:86], v[73:74]
	v_add_f64 v[81:82], v[89:90], v[81:82]
	v_fma_f64 v[85:86], v[60:61], s[4:5], v[130:131]
	v_fma_f64 v[89:90], v[60:61], s[30:31], -v[134:135]
	v_mul_f64 v[130:131], v[122:123], s[18:19]
	v_add_f64 v[103:104], v[103:104], v[142:143]
	v_add_f64 v[75:76], v[87:88], v[75:76]
	;; [unrolled: 1-line block ×3, first 2 shown]
	v_fma_f64 v[87:88], v[62:63], s[4:5], -v[132:133]
	v_fma_f64 v[91:92], v[62:63], s[30:31], v[136:137]
	v_mul_f64 v[132:133], v[124:125], s[18:19]
	v_add_f64 v[89:90], v[89:90], v[101:102]
	v_fma_f64 v[101:102], v[60:61], s[6:7], v[130:131]
	v_mul_f64 v[122:123], v[122:123], s[20:21]
	v_add_f64 v[95:96], v[144:145], v[95:96]
	v_add_f64 v[126:127], v[138:139], v[126:127]
	v_mul_f64 v[124:125], v[124:125], s[20:21]
	v_add_f64 v[91:92], v[91:92], v[103:104]
	v_fma_f64 v[103:104], v[62:63], s[6:7], -v[132:133]
	v_add_f64 v[144:145], v[54:55], -v[58:59]
	v_add_f64 v[146:147], v[52:53], -v[56:57]
	v_add_f64 v[101:102], v[101:102], v[109:110]
	v_fma_f64 v[109:110], v[60:61], s[16:17], -v[122:123]
	v_add_f64 v[128:129], v[140:141], v[128:129]
	v_fma_f64 v[134:135], v[60:61], s[30:31], v[134:135]
	v_fma_f64 v[136:137], v[62:63], s[30:31], -v[136:137]
	v_add_f64 v[85:86], v[85:86], v[97:98]
	v_add_f64 v[87:88], v[87:88], v[99:100]
	v_fma_f64 v[97:98], v[60:61], s[6:7], -v[130:131]
	v_fma_f64 v[99:100], v[62:63], s[6:7], v[132:133]
	v_add_f64 v[103:104], v[103:104], v[116:117]
	v_fma_f64 v[116:117], v[62:63], s[16:17], v[124:125]
	v_add_f64 v[52:53], v[52:53], v[56:57]
	v_add_f64 v[54:55], v[54:55], v[58:59]
	v_mul_f64 v[56:57], v[144:145], s[34:35]
	v_mul_f64 v[58:59], v[146:147], s[34:35]
	v_fma_f64 v[60:61], v[60:61], s[16:17], v[122:123]
	v_fma_f64 v[62:63], v[62:63], s[16:17], -v[124:125]
	v_add_f64 v[109:110], v[109:110], v[126:127]
	v_mul_f64 v[124:125], v[144:145], s[18:19]
	v_mul_f64 v[126:127], v[146:147], s[18:19]
	v_add_f64 v[97:98], v[97:98], v[118:119]
	v_add_f64 v[150:151], v[116:117], v[128:129]
	v_fma_f64 v[116:117], v[52:53], s[30:31], -v[56:57]
	v_fma_f64 v[118:119], v[54:55], s[30:31], v[58:59]
	v_add_f64 v[60:61], v[60:61], v[69:70]
	v_add_f64 v[62:63], v[62:63], v[71:72]
	v_fma_f64 v[56:57], v[52:53], s[30:31], v[56:57]
	v_fma_f64 v[58:59], v[54:55], s[30:31], -v[58:59]
	v_fma_f64 v[69:70], v[52:53], s[6:7], -v[124:125]
	v_fma_f64 v[71:72], v[54:55], s[6:7], v[126:127]
	v_add_f64 v[93:94], v[134:135], v[93:94]
	v_add_f64 v[99:100], v[99:100], v[120:121]
	;; [unrolled: 1-line block ×4, first 2 shown]
	v_mul_f64 v[77:78], v[144:145], s[24:25]
	v_mul_f64 v[79:80], v[146:147], s[24:25]
	v_add_f64 v[132:133], v[56:57], v[64:65]
	v_add_f64 v[134:135], v[58:59], v[66:67]
	;; [unrolled: 1-line block ×4, first 2 shown]
	v_fma_f64 v[56:57], v[52:53], s[6:7], v[124:125]
	v_fma_f64 v[58:59], v[54:55], s[6:7], -v[126:127]
	v_mul_f64 v[69:70], v[144:145], s[36:37]
	v_mul_f64 v[71:72], v[146:147], s[36:37]
	v_fma_f64 v[64:65], v[52:53], s[22:23], -v[77:78]
	v_fma_f64 v[66:67], v[54:55], s[22:23], v[79:80]
	v_add_f64 v[95:96], v[136:137], v[95:96]
	v_fma_f64 v[77:78], v[52:53], s[22:23], v[77:78]
	v_add_f64 v[140:141], v[56:57], v[73:74]
	v_add_f64 v[142:143], v[58:59], v[75:76]
	v_fma_f64 v[56:57], v[52:53], s[4:5], -v[69:70]
	v_fma_f64 v[58:59], v[54:55], s[4:5], v[71:72]
	v_add_f64 v[124:125], v[64:65], v[81:82]
	v_add_f64 v[126:127], v[66:67], v[83:84]
	v_fma_f64 v[64:65], v[52:53], s[4:5], v[69:70]
	v_fma_f64 v[66:67], v[54:55], s[4:5], -v[71:72]
	v_mul_f64 v[69:70], v[144:145], s[20:21]
	v_mul_f64 v[71:72], v[146:147], s[20:21]
	v_add_f64 v[128:129], v[56:57], v[89:90]
	v_add_f64 v[130:131], v[58:59], v[91:92]
	v_mul_f64 v[56:57], v[144:145], s[28:29]
	v_mul_f64 v[58:59], v[146:147], s[28:29]
	v_fma_f64 v[79:80], v[54:55], s[22:23], -v[79:80]
	v_add_f64 v[152:153], v[64:65], v[93:94]
	v_add_f64 v[154:155], v[66:67], v[95:96]
	v_fma_f64 v[64:65], v[52:53], s[16:17], -v[69:70]
	v_fma_f64 v[66:67], v[54:55], s[16:17], v[71:72]
	v_fma_f64 v[69:70], v[52:53], s[16:17], v[69:70]
	v_fma_f64 v[71:72], v[54:55], s[16:17], -v[71:72]
	v_fma_f64 v[73:74], v[52:53], s[0:1], -v[56:57]
	v_fma_f64 v[75:76], v[54:55], s[0:1], v[58:59]
	v_fma_f64 v[52:53], v[52:53], s[0:1], v[56:57]
	v_fma_f64 v[54:55], v[54:55], s[0:1], -v[58:59]
	v_add_f64 v[136:137], v[77:78], v[85:86]
	v_add_f64 v[138:139], v[79:80], v[87:88]
	;; [unrolled: 1-line block ×10, first 2 shown]
	v_mul_u32_u24_e32 v52, 13, v199
	v_add_lshl_u32 v203, v68, v52, 4
	ds_write_b128 v203, v[112:115]
	ds_write_b128 v203, v[116:119] offset:16
	ds_write_b128 v203, v[120:123] offset:32
	;; [unrolled: 1-line block ×12, first 2 shown]
	s_waitcnt lgkmcnt(0)
	; wave barrier
	s_waitcnt lgkmcnt(0)
	s_and_saveexec_b64 s[0:1], vcc
	s_cbranch_execz .LBB0_3
; %bb.2:
	ds_read_b128 v[112:115], v201
	ds_read_b128 v[116:119], v200 offset:208
	ds_read_b128 v[120:123], v200 offset:416
	;; [unrolled: 1-line block ×15, first 2 shown]
.LBB0_3:
	s_or_b64 exec, exec, s[0:1]
	v_add_u32_e32 v52, -13, v199
	v_cndmask_b32_e32 v52, v52, v199, vcc
	v_mul_hi_i32_i24_e32 v53, 0xf0, v52
	v_mul_i32_i24_e32 v52, 0xf0, v52
	v_mov_b32_e32 v54, s15
	v_add_co_u32_e64 v104, s[0:1], s14, v52
	v_addc_co_u32_e64 v105, s[0:1], v54, v53, s[0:1]
	global_load_dwordx4 v[56:59], v[104:105], off
	global_load_dwordx4 v[68:71], v[104:105], off offset:16
	global_load_dwordx4 v[60:63], v[104:105], off offset:32
	;; [unrolled: 1-line block ×13, first 2 shown]
	s_nop 0
	global_load_dwordx4 v[104:107], v[104:105], off offset:224
	s_mov_b32 s4, 0x667f3bcd
	s_mov_b32 s5, 0xbfe6a09e
	;; [unrolled: 1-line block ×12, first 2 shown]
	s_waitcnt vmcnt(14) lgkmcnt(14)
	v_mul_f64 v[179:180], v[118:119], v[58:59]
	v_mul_f64 v[181:182], v[116:117], v[58:59]
	s_waitcnt vmcnt(13) lgkmcnt(13)
	v_mul_f64 v[183:184], v[122:123], v[70:71]
	v_mul_f64 v[185:186], v[120:121], v[70:71]
	s_waitcnt vmcnt(11) lgkmcnt(11)
	v_mul_f64 v[191:192], v[130:131], v[54:55]
	v_mul_f64 v[193:194], v[128:129], v[54:55]
	s_waitcnt vmcnt(10) lgkmcnt(10)
	v_mul_f64 v[195:196], v[146:147], v[74:75]
	v_mul_f64 v[197:198], v[144:145], v[74:75]
	s_waitcnt vmcnt(9) lgkmcnt(9)
	v_mul_f64 v[204:205], v[150:151], v[94:95]
	v_mul_f64 v[206:207], v[148:149], v[94:95]
	s_waitcnt vmcnt(8) lgkmcnt(8)
	v_mul_f64 v[208:209], v[158:159], v[78:79]
	v_mul_f64 v[210:211], v[156:157], v[78:79]
	s_waitcnt vmcnt(7) lgkmcnt(7)
	v_mul_f64 v[212:213], v[162:163], v[66:67]
	v_mul_f64 v[214:215], v[160:161], v[66:67]
	s_waitcnt vmcnt(6) lgkmcnt(6)
	v_mul_f64 v[216:217], v[154:155], v[86:87]
	v_mul_f64 v[218:219], v[152:153], v[86:87]
	s_waitcnt vmcnt(5) lgkmcnt(5)
	v_mul_f64 v[220:221], v[138:139], v[98:99]
	v_mul_f64 v[222:223], v[136:137], v[98:99]
	s_waitcnt vmcnt(3) lgkmcnt(3)
	v_mul_f64 v[228:229], v[134:135], v[82:83]
	v_mul_f64 v[230:231], v[132:133], v[82:83]
	s_waitcnt vmcnt(2) lgkmcnt(2)
	v_mul_f64 v[232:233], v[166:167], v[102:103]
	v_mul_f64 v[234:235], v[164:165], v[102:103]
	s_waitcnt vmcnt(1) lgkmcnt(1)
	v_mul_f64 v[236:237], v[170:171], v[110:111]
	v_mul_f64 v[238:239], v[168:169], v[110:111]
	v_mul_f64 v[187:188], v[126:127], v[62:63]
	v_mul_f64 v[189:190], v[124:125], v[62:63]
	;; [unrolled: 1-line block ×4, first 2 shown]
	s_waitcnt vmcnt(0) lgkmcnt(0)
	v_mul_f64 v[240:241], v[174:175], v[106:107]
	v_mul_f64 v[242:243], v[172:173], v[106:107]
	v_fma_f64 v[116:117], v[116:117], v[56:57], -v[179:180]
	v_fma_f64 v[118:119], v[118:119], v[56:57], v[181:182]
	v_fma_f64 v[120:121], v[120:121], v[68:69], -v[183:184]
	v_fma_f64 v[122:123], v[122:123], v[68:69], v[185:186]
	;; [unrolled: 2-line block ×15, first 2 shown]
	v_add_f64 v[170:171], v[112:113], -v[146:147]
	v_add_f64 v[172:173], v[114:115], -v[156:157]
	;; [unrolled: 1-line block ×15, first 2 shown]
	v_fma_f64 v[146:147], v[112:113], 2.0, -v[170:171]
	v_fma_f64 v[162:163], v[114:115], 2.0, -v[172:173]
	v_fma_f64 v[112:113], v[128:129], 2.0, -v[132:133]
	v_fma_f64 v[114:115], v[130:131], 2.0, -v[134:135]
	v_fma_f64 v[152:153], v[120:121], 2.0, -v[136:137]
	v_fma_f64 v[120:121], v[148:149], 2.0, -v[138:139]
	v_fma_f64 v[166:167], v[116:117], 2.0, -v[189:190]
	v_fma_f64 v[156:157], v[118:119], 2.0, -v[191:192]
	v_add_f64 v[116:117], v[183:184], -v[168:169]
	v_fma_f64 v[118:119], v[144:145], 2.0, -v[193:194]
	v_fma_f64 v[148:149], v[179:180], 2.0, -v[160:161]
	v_add_f64 v[128:129], v[170:171], -v[134:135]
	v_add_f64 v[154:155], v[172:173], v[132:133]
	v_add_f64 v[179:180], v[136:137], -v[185:186]
	v_add_f64 v[134:135], v[174:175], v[138:139]
	v_fma_f64 v[164:165], v[122:123], 2.0, -v[174:175]
	v_fma_f64 v[122:123], v[150:151], 2.0, -v[185:186]
	v_fma_f64 v[158:159], v[126:127], 2.0, -v[197:198]
	v_fma_f64 v[132:133], v[183:184], 2.0, -v[116:117]
	v_add_f64 v[126:127], v[146:147], -v[112:113]
	v_add_f64 v[144:145], v[162:163], -v[114:115]
	v_fma_f64 v[130:131], v[170:171], 2.0, -v[128:129]
	v_fma_f64 v[138:139], v[172:173], 2.0, -v[154:155]
	;; [unrolled: 1-line block ×4, first 2 shown]
	v_add_f64 v[136:137], v[166:167], -v[118:119]
	v_add_f64 v[140:141], v[189:190], -v[160:161]
	v_add_f64 v[172:173], v[191:192], v[193:194]
	v_add_f64 v[116:117], v[195:196], -v[116:117]
	v_add_f64 v[118:119], v[197:198], v[142:143]
	v_fma_f64 v[168:169], v[124:125], 2.0, -v[195:196]
	v_fma_f64 v[124:125], v[181:182], 2.0, -v[142:143]
	v_add_f64 v[183:184], v[152:153], -v[120:121]
	v_add_f64 v[187:188], v[164:165], -v[122:123]
	;; [unrolled: 1-line block ×3, first 2 shown]
	v_fma_f64 v[120:121], v[112:113], s[4:5], v[130:131]
	v_fma_f64 v[142:143], v[189:190], 2.0, -v[140:141]
	v_fma_f64 v[148:149], v[191:192], 2.0, -v[172:173]
	v_fma_f64 v[122:123], v[114:115], s[4:5], v[138:139]
	v_fma_f64 v[174:175], v[195:196], 2.0, -v[116:117]
	v_fma_f64 v[170:171], v[197:198], 2.0, -v[118:119]
	v_add_f64 v[193:194], v[168:169], -v[124:125]
	v_add_f64 v[191:192], v[158:159], -v[132:133]
	v_fma_f64 v[124:125], v[114:115], s[4:5], v[120:121]
	v_fma_f64 v[114:115], v[134:135], s[6:7], v[154:155]
	;; [unrolled: 1-line block ×8, first 2 shown]
	v_add_f64 v[132:133], v[126:127], -v[187:188]
	v_add_f64 v[185:186], v[144:145], v[183:184]
	v_fma_f64 v[195:196], v[179:180], s[6:7], v[114:115]
	v_add_f64 v[189:190], v[150:151], v[193:194]
	v_fma_f64 v[134:135], v[134:135], s[4:5], v[112:113]
	v_fma_f64 v[170:171], v[170:171], s[4:5], v[120:121]
	;; [unrolled: 1-line block ×3, first 2 shown]
	v_add_f64 v[174:175], v[136:137], -v[191:192]
	v_fma_f64 v[179:180], v[118:119], s[4:5], v[197:198]
	v_fma_f64 v[197:198], v[116:117], s[6:7], v[204:205]
	;; [unrolled: 1-line block ×14, first 2 shown]
	s_and_saveexec_b64 s[0:1], vcc
	s_cbranch_execz .LBB0_5
; %bb.4:
	v_fma_f64 v[204:205], v[162:163], 2.0, -v[144:145]
	v_fma_f64 v[162:163], v[164:165], 2.0, -v[187:188]
	;; [unrolled: 1-line block ×9, first 2 shown]
	v_add_f64 v[158:159], v[204:205], -v[162:163]
	v_fma_f64 v[162:163], v[160:161], 2.0, -v[114:115]
	v_add_f64 v[166:167], v[164:165], -v[166:167]
	v_fma_f64 v[160:161], v[138:139], 2.0, -v[160:161]
	;; [unrolled: 2-line block ×4, first 2 shown]
	v_fma_f64 v[191:192], v[154:155], 2.0, -v[195:196]
	v_fma_f64 v[172:173], v[172:173], 2.0, -v[197:198]
	v_add_f64 v[156:157], v[158:159], v[166:167]
	v_fma_f64 v[144:145], v[144:145], 2.0, -v[185:186]
	v_fma_f64 v[150:151], v[150:151], 2.0, -v[189:190]
	;; [unrolled: 1-line block ×7, first 2 shown]
	v_add_f64 v[154:155], v[193:194], -v[183:184]
	v_fma_f64 v[138:139], v[158:159], 2.0, -v[156:157]
	v_fma_f64 v[174:175], v[148:149], s[16:17], v[160:161]
	v_fma_f64 v[158:159], v[204:205], 2.0, -v[158:159]
	v_fma_f64 v[183:184], v[187:188], 2.0, -v[183:184]
	;; [unrolled: 1-line block ×5, first 2 shown]
	v_fma_f64 v[185:186], v[170:171], s[16:17], v[130:131]
	v_fma_f64 v[181:182], v[172:173], s[20:21], v[191:192]
	;; [unrolled: 1-line block ×6, first 2 shown]
	v_add_f64 v[170:171], v[158:159], -v[183:184]
	v_add_f64 v[168:169], v[187:188], -v[164:165]
	v_fma_f64 v[164:165], v[148:149], s[20:21], v[185:186]
	v_fma_f64 v[128:129], v[140:141], s[18:19], v[181:182]
	;; [unrolled: 1-line block ×5, first 2 shown]
	v_fma_f64 v[185:186], v[160:161], 2.0, -v[166:167]
	v_fma_f64 v[189:190], v[158:159], 2.0, -v[170:171]
	;; [unrolled: 1-line block ×12, first 2 shown]
	ds_write_b128 v201, v[187:190]
	ds_write_b128 v200, v[183:186] offset:208
	ds_write_b128 v200, v[179:182] offset:416
	;; [unrolled: 1-line block ×15, first 2 shown]
.LBB0_5:
	s_or_b64 exec, exec, s[0:1]
	s_waitcnt lgkmcnt(0)
	; wave barrier
	s_waitcnt lgkmcnt(0)
	global_load_dwordx4 v[132:135], v[177:178], off offset:3328
	s_add_u32 s0, s12, 0xd00
	s_addc_u32 s1, s13, 0
	global_load_dwordx4 v[124:127], v202, s[0:1] offset:256
	global_load_dwordx4 v[128:131], v202, s[0:1] offset:512
	;; [unrolled: 1-line block ×12, first 2 shown]
	ds_read_b128 v[177:180], v201
	s_mov_b32 s24, 0x4267c47c
	s_mov_b32 s25, 0xbfddbe06
	;; [unrolled: 1-line block ×36, first 2 shown]
	s_waitcnt vmcnt(12) lgkmcnt(0)
	v_mul_f64 v[181:182], v[179:180], v[134:135]
	v_mul_f64 v[134:135], v[177:178], v[134:135]
	v_fma_f64 v[177:178], v[177:178], v[132:133], -v[181:182]
	v_fma_f64 v[179:180], v[179:180], v[132:133], v[134:135]
	ds_write_b128 v201, v[177:180]
	ds_read_b128 v[132:135], v200 offset:256
	ds_read_b128 v[177:180], v200 offset:512
	;; [unrolled: 1-line block ×12, first 2 shown]
	s_waitcnt vmcnt(11) lgkmcnt(11)
	v_mul_f64 v[197:198], v[134:135], v[126:127]
	v_mul_f64 v[126:127], v[132:133], v[126:127]
	s_waitcnt vmcnt(10) lgkmcnt(10)
	v_mul_f64 v[228:229], v[179:180], v[130:131]
	v_mul_f64 v[230:231], v[177:178], v[130:131]
	;; [unrolled: 3-line block ×12, first 2 shown]
	v_fma_f64 v[130:131], v[132:133], v[124:125], -v[197:198]
	v_fma_f64 v[132:133], v[134:135], v[124:125], v[126:127]
	v_fma_f64 v[124:125], v[177:178], v[128:129], -v[228:229]
	v_fma_f64 v[126:127], v[179:180], v[128:129], v[230:231]
	v_fma_f64 v[134:135], v[181:182], v[136:137], -v[232:233]
	v_fma_f64 v[136:137], v[183:184], v[136:137], v[138:139]
	v_fma_f64 v[138:139], v[185:186], v[140:141], -v[234:235]
	v_fma_f64 v[140:141], v[187:188], v[140:141], v[142:143]
	v_fma_f64 v[142:143], v[189:190], v[144:145], -v[236:237]
	v_fma_f64 v[144:145], v[191:192], v[144:145], v[146:147]
	v_fma_f64 v[146:147], v[193:194], v[148:149], -v[238:239]
	v_fma_f64 v[148:149], v[195:196], v[148:149], v[150:151]
	v_fma_f64 v[150:151], v[204:205], v[152:153], -v[240:241]
	v_fma_f64 v[152:153], v[206:207], v[152:153], v[154:155]
	v_fma_f64 v[154:155], v[208:209], v[156:157], -v[242:243]
	v_fma_f64 v[156:157], v[210:211], v[156:157], v[158:159]
	v_fma_f64 v[158:159], v[212:213], v[160:161], -v[244:245]
	v_fma_f64 v[160:161], v[214:215], v[160:161], v[162:163]
	v_fma_f64 v[162:163], v[216:217], v[164:165], -v[246:247]
	v_fma_f64 v[164:165], v[218:219], v[164:165], v[166:167]
	v_fma_f64 v[166:167], v[220:221], v[168:169], -v[248:249]
	v_fma_f64 v[168:169], v[222:223], v[168:169], v[170:171]
	v_fma_f64 v[170:171], v[224:225], v[172:173], -v[250:251]
	v_fma_f64 v[172:173], v[226:227], v[172:173], v[174:175]
	ds_write_b128 v200, v[130:133] offset:256
	ds_write_b128 v200, v[124:127] offset:512
	;; [unrolled: 1-line block ×12, first 2 shown]
	s_waitcnt lgkmcnt(0)
	; wave barrier
	s_waitcnt lgkmcnt(0)
	ds_read_b128 v[136:139], v201
	ds_read_b128 v[124:127], v200 offset:256
	ds_read_b128 v[140:143], v200 offset:512
	;; [unrolled: 1-line block ×6, first 2 shown]
	s_waitcnt lgkmcnt(5)
	v_add_f64 v[128:129], v[136:137], v[124:125]
	v_add_f64 v[130:131], v[138:139], v[126:127]
	s_waitcnt lgkmcnt(0)
	v_add_f64 v[177:178], v[126:127], -v[158:159]
	v_add_f64 v[179:180], v[126:127], v[158:159]
	v_add_f64 v[183:184], v[124:125], v[156:157]
	v_add_f64 v[185:186], v[124:125], -v[156:157]
	v_add_f64 v[128:129], v[128:129], v[140:141]
	v_add_f64 v[130:131], v[130:131], v[142:143]
	v_mul_f64 v[124:125], v[177:178], s[24:25]
	v_mul_f64 v[189:190], v[177:178], s[12:13]
	;; [unrolled: 1-line block ×5, first 2 shown]
	v_add_f64 v[168:169], v[128:129], v[144:145]
	v_add_f64 v[170:171], v[130:131], v[146:147]
	ds_read_b128 v[128:131], v200 offset:1536
	ds_read_b128 v[132:135], v200 offset:1792
	;; [unrolled: 1-line block ×4, first 2 shown]
	v_mul_f64 v[197:198], v[177:178], s[16:17]
	v_mul_f64 v[204:205], v[179:180], s[26:27]
	v_fma_f64 v[210:211], v[183:184], s[20:21], v[124:125]
	v_fma_f64 v[124:125], v[183:184], s[20:21], -v[124:125]
	v_fma_f64 v[214:215], v[183:184], s[14:15], v[189:190]
	v_add_f64 v[126:127], v[168:169], v[148:149]
	v_add_f64 v[181:182], v[170:171], v[150:151]
	ds_read_b128 v[168:171], v200 offset:2560
	ds_read_b128 v[172:175], v200 offset:2816
	v_fma_f64 v[216:217], v[185:186], s[18:19], v[191:192]
	v_fma_f64 v[218:219], v[183:184], s[4:5], v[193:194]
	;; [unrolled: 1-line block ×5, first 2 shown]
	v_add_f64 v[126:127], v[126:127], v[152:153]
	v_add_f64 v[181:182], v[181:182], v[154:155]
	;; [unrolled: 1-line block ×3, first 2 shown]
	v_mul_f64 v[187:188], v[179:180], s[20:21]
	v_mul_f64 v[206:207], v[177:178], s[30:31]
	;; [unrolled: 1-line block ×3, first 2 shown]
	v_fma_f64 v[191:192], v[185:186], s[12:13], v[191:192]
	v_fma_f64 v[195:196], v[185:186], s[0:1], v[195:196]
	s_waitcnt lgkmcnt(5)
	v_add_f64 v[126:127], v[126:127], v[128:129]
	v_add_f64 v[181:182], v[181:182], v[130:131]
	v_fma_f64 v[204:205], v[185:186], s[16:17], v[204:205]
	v_fma_f64 v[212:213], v[185:186], s[22:23], v[187:188]
	v_fma_f64 v[187:188], v[185:186], s[24:25], v[187:188]
	v_fma_f64 v[226:227], v[183:184], s[34:35], v[206:207]
	v_fma_f64 v[228:229], v[185:186], s[36:37], v[208:209]
	v_mul_f64 v[177:178], v[177:178], s[38:39]
	s_waitcnt lgkmcnt(4)
	v_add_f64 v[126:127], v[126:127], v[132:133]
	v_add_f64 v[181:182], v[181:182], v[134:135]
	v_fma_f64 v[208:209], v[185:186], s[30:31], v[208:209]
	v_fma_f64 v[189:190], v[183:184], s[14:15], -v[189:190]
	v_fma_f64 v[193:194], v[183:184], s[4:5], -v[193:194]
	;; [unrolled: 1-line block ×3, first 2 shown]
	v_add_f64 v[212:213], v[138:139], v[212:213]
	v_add_f64 v[187:188], v[138:139], v[187:188]
	s_waitcnt lgkmcnt(3)
	v_add_f64 v[126:127], v[126:127], v[160:161]
	v_add_f64 v[181:182], v[181:182], v[162:163]
	;; [unrolled: 1-line block ×5, first 2 shown]
	v_fma_f64 v[206:207], v[183:184], s[34:35], -v[206:207]
	v_add_f64 v[210:211], v[136:137], v[210:211]
	v_add_f64 v[189:190], v[136:137], v[189:190]
	s_waitcnt lgkmcnt(2)
	v_add_f64 v[126:127], v[126:127], v[164:165]
	v_add_f64 v[181:182], v[181:182], v[166:167]
	;; [unrolled: 1-line block ×4, first 2 shown]
	s_waitcnt lgkmcnt(0)
	; wave barrier
	s_waitcnt lgkmcnt(0)
	v_add_f64 v[124:125], v[126:127], v[168:169]
	v_add_f64 v[126:127], v[181:182], v[170:171]
	;; [unrolled: 1-line block ×10, first 2 shown]
	v_add_f64 v[142:143], v[142:143], -v[174:175]
	v_mul_f64 v[174:175], v[179:180], s[40:41]
	v_add_f64 v[124:125], v[124:125], v[172:173]
	v_fma_f64 v[179:180], v[183:184], s[40:41], v[177:178]
	v_fma_f64 v[177:178], v[183:184], s[40:41], -v[177:178]
	v_add_f64 v[183:184], v[136:137], v[206:207]
	v_add_f64 v[126:127], v[126:127], v[158:159]
	;; [unrolled: 1-line block ×3, first 2 shown]
	v_fma_f64 v[232:233], v[185:186], s[42:43], v[174:175]
	v_fma_f64 v[174:175], v[185:186], s[38:39], v[174:175]
	v_add_f64 v[124:125], v[124:125], v[156:157]
	v_add_f64 v[156:157], v[136:137], v[226:227]
	;; [unrolled: 1-line block ×3, first 2 shown]
	v_add_f64 v[140:141], v[140:141], -v[172:173]
	v_mul_f64 v[172:173], v[142:143], s[12:13]
	v_mul_f64 v[228:229], v[224:225], s[14:15]
	v_add_f64 v[185:186], v[138:139], v[208:209]
	v_add_f64 v[232:233], v[138:139], v[232:233]
	;; [unrolled: 1-line block ×3, first 2 shown]
	v_mul_f64 v[174:175], v[142:143], s[16:17]
	v_add_f64 v[179:180], v[136:137], v[179:180]
	v_add_f64 v[136:137], v[136:137], v[177:178]
	v_fma_f64 v[206:207], v[226:227], s[14:15], v[172:173]
	v_fma_f64 v[208:209], v[140:141], s[18:19], v[228:229]
	v_mul_f64 v[177:178], v[224:225], s[26:27]
	v_fma_f64 v[172:173], v[226:227], s[14:15], -v[172:173]
	v_fma_f64 v[234:235], v[226:227], s[26:27], v[174:175]
	v_fma_f64 v[174:175], v[226:227], s[26:27], -v[174:175]
	v_add_f64 v[206:207], v[206:207], v[210:211]
	v_add_f64 v[208:209], v[208:209], v[212:213]
	v_fma_f64 v[210:211], v[140:141], s[12:13], v[228:229]
	v_mul_f64 v[212:213], v[142:143], s[38:39]
	v_mul_f64 v[228:229], v[224:225], s[40:41]
	v_fma_f64 v[236:237], v[140:141], s[28:29], v[177:178]
	v_fma_f64 v[177:178], v[140:141], s[16:17], v[177:178]
	v_add_f64 v[174:175], v[174:175], v[189:190]
	v_mul_f64 v[189:190], v[142:143], s[36:37]
	v_add_f64 v[172:173], v[172:173], v[230:231]
	v_add_f64 v[187:188], v[210:211], v[187:188]
	v_fma_f64 v[210:211], v[226:227], s[40:41], v[212:213]
	v_fma_f64 v[230:231], v[140:141], s[42:43], v[228:229]
	v_add_f64 v[181:182], v[234:235], v[181:182]
	v_add_f64 v[177:178], v[177:178], v[191:192]
	v_mul_f64 v[191:192], v[224:225], s[34:35]
	v_fma_f64 v[234:235], v[226:227], s[34:35], v[189:190]
	v_fma_f64 v[189:190], v[226:227], s[34:35], -v[189:190]
	v_add_f64 v[214:215], v[236:237], v[214:215]
	v_add_f64 v[210:211], v[210:211], v[216:217]
	;; [unrolled: 1-line block ×3, first 2 shown]
	v_mul_f64 v[218:219], v[142:143], s[6:7]
	v_mul_f64 v[230:231], v[224:225], s[4:5]
	v_fma_f64 v[236:237], v[140:141], s[30:31], v[191:192]
	v_fma_f64 v[191:192], v[140:141], s[36:37], v[191:192]
	v_add_f64 v[189:190], v[189:190], v[197:198]
	v_add_f64 v[197:198], v[146:147], -v[170:171]
	v_add_f64 v[146:147], v[146:147], v[170:171]
	v_mul_f64 v[170:171], v[224:225], s[20:21]
	v_fma_f64 v[212:213], v[226:227], s[40:41], -v[212:213]
	v_fma_f64 v[228:229], v[140:141], s[38:39], v[228:229]
	v_fma_f64 v[238:239], v[226:227], s[4:5], v[218:219]
	v_fma_f64 v[240:241], v[140:141], s[0:1], v[230:231]
	v_add_f64 v[191:192], v[191:192], v[204:205]
	v_mul_f64 v[142:143], v[142:143], s[22:23]
	v_fma_f64 v[204:205], v[226:227], s[4:5], -v[218:219]
	v_fma_f64 v[218:219], v[140:141], s[6:7], v[230:231]
	v_fma_f64 v[230:231], v[140:141], s[24:25], v[170:171]
	;; [unrolled: 1-line block ×3, first 2 shown]
	v_add_f64 v[193:194], v[212:213], v[193:194]
	v_add_f64 v[195:196], v[228:229], v[195:196]
	;; [unrolled: 1-line block ×5, first 2 shown]
	v_add_f64 v[144:145], v[144:145], -v[168:169]
	v_mul_f64 v[168:169], v[197:198], s[0:1]
	v_mul_f64 v[224:225], v[146:147], s[4:5]
	v_fma_f64 v[228:229], v[226:227], s[20:21], v[142:143]
	v_fma_f64 v[142:143], v[226:227], s[20:21], -v[142:143]
	v_add_f64 v[138:139], v[140:141], v[138:139]
	v_mul_f64 v[140:141], v[197:198], s[38:39]
	v_add_f64 v[170:171], v[204:205], v[183:184]
	v_add_f64 v[183:184], v[218:219], v[185:186]
	v_fma_f64 v[185:186], v[222:223], s[4:5], v[168:169]
	v_fma_f64 v[204:205], v[144:145], s[6:7], v[224:225]
	v_add_f64 v[179:180], v[228:229], v[179:180]
	v_add_f64 v[136:137], v[142:143], v[136:137]
	v_mul_f64 v[142:143], v[146:147], s[40:41]
	v_fma_f64 v[226:227], v[222:223], s[40:41], v[140:141]
	v_fma_f64 v[140:141], v[222:223], s[40:41], -v[140:141]
	v_fma_f64 v[168:169], v[222:223], s[4:5], -v[168:169]
	v_add_f64 v[185:186], v[185:186], v[206:207]
	v_add_f64 v[204:205], v[204:205], v[208:209]
	v_fma_f64 v[206:207], v[144:145], s[0:1], v[224:225]
	v_mul_f64 v[208:209], v[197:198], s[28:29]
	v_mul_f64 v[224:225], v[146:147], s[26:27]
	v_fma_f64 v[228:229], v[144:145], s[42:43], v[142:143]
	v_fma_f64 v[142:143], v[144:145], s[38:39], v[142:143]
	v_add_f64 v[140:141], v[140:141], v[174:175]
	v_mul_f64 v[174:175], v[197:198], s[22:23]
	v_add_f64 v[168:169], v[168:169], v[172:173]
	v_add_f64 v[172:173], v[206:207], v[187:188]
	v_fma_f64 v[187:188], v[222:223], s[26:27], v[208:209]
	v_fma_f64 v[206:207], v[144:145], s[16:17], v[224:225]
	v_add_f64 v[181:182], v[226:227], v[181:182]
	v_add_f64 v[142:143], v[142:143], v[177:178]
	v_mul_f64 v[177:178], v[146:147], s[20:21]
	v_fma_f64 v[226:227], v[222:223], s[20:21], v[174:175]
	v_fma_f64 v[174:175], v[222:223], s[20:21], -v[174:175]
	v_add_f64 v[214:215], v[228:229], v[214:215]
	v_add_f64 v[187:188], v[187:188], v[210:211]
	;; [unrolled: 1-line block ×3, first 2 shown]
	v_mul_f64 v[210:211], v[197:198], s[12:13]
	v_mul_f64 v[216:217], v[146:147], s[14:15]
	v_fma_f64 v[208:209], v[222:223], s[26:27], -v[208:209]
	v_fma_f64 v[224:225], v[144:145], s[28:29], v[224:225]
	v_fma_f64 v[228:229], v[144:145], s[24:25], v[177:178]
	;; [unrolled: 1-line block ×3, first 2 shown]
	v_add_f64 v[174:175], v[174:175], v[189:190]
	v_add_f64 v[189:190], v[150:151], -v[166:167]
	v_add_f64 v[150:151], v[150:151], v[166:167]
	v_mul_f64 v[166:167], v[197:198], s[30:31]
	v_mul_f64 v[146:147], v[146:147], s[34:35]
	v_add_f64 v[218:219], v[230:231], v[232:233]
	v_fma_f64 v[230:231], v[222:223], s[14:15], v[210:211]
	v_fma_f64 v[232:233], v[144:145], s[18:19], v[216:217]
	v_add_f64 v[193:194], v[208:209], v[193:194]
	v_add_f64 v[195:196], v[224:225], v[195:196]
	;; [unrolled: 1-line block ×5, first 2 shown]
	v_fma_f64 v[191:192], v[222:223], s[14:15], -v[210:211]
	v_fma_f64 v[197:198], v[144:145], s[12:13], v[216:217]
	v_add_f64 v[210:211], v[148:149], v[164:165]
	v_add_f64 v[148:149], v[148:149], -v[164:165]
	v_mul_f64 v[164:165], v[189:190], s[16:17]
	v_mul_f64 v[216:217], v[150:151], s[26:27]
	v_fma_f64 v[220:221], v[222:223], s[34:35], v[166:167]
	v_fma_f64 v[224:225], v[144:145], s[36:37], v[146:147]
	v_fma_f64 v[166:167], v[222:223], s[34:35], -v[166:167]
	v_fma_f64 v[144:145], v[144:145], s[30:31], v[146:147]
	v_add_f64 v[146:147], v[191:192], v[170:171]
	v_add_f64 v[170:171], v[197:198], v[183:184]
	v_fma_f64 v[183:184], v[210:211], s[26:27], v[164:165]
	v_fma_f64 v[191:192], v[148:149], s[28:29], v[216:217]
	v_add_f64 v[179:180], v[220:221], v[179:180]
	v_add_f64 v[197:198], v[224:225], v[218:219]
	;; [unrolled: 1-line block ×4, first 2 shown]
	v_mul_f64 v[144:145], v[189:190], s[36:37]
	v_mul_f64 v[166:167], v[150:151], s[34:35]
	v_add_f64 v[183:184], v[183:184], v[185:186]
	v_add_f64 v[185:186], v[191:192], v[204:205]
	v_fma_f64 v[164:165], v[210:211], s[26:27], -v[164:165]
	v_fma_f64 v[191:192], v[148:149], s[16:17], v[216:217]
	v_mul_f64 v[204:205], v[189:190], s[22:23]
	v_mul_f64 v[216:217], v[150:151], s[20:21]
	v_fma_f64 v[218:219], v[210:211], s[34:35], v[144:145]
	v_fma_f64 v[220:221], v[148:149], s[30:31], v[166:167]
	v_fma_f64 v[144:145], v[210:211], s[34:35], -v[144:145]
	v_fma_f64 v[166:167], v[148:149], s[36:37], v[166:167]
	v_add_f64 v[164:165], v[164:165], v[168:169]
	v_add_f64 v[168:169], v[191:192], v[172:173]
	v_fma_f64 v[172:173], v[210:211], s[20:21], v[204:205]
	v_fma_f64 v[191:192], v[148:149], s[24:25], v[216:217]
	v_add_f64 v[156:157], v[238:239], v[156:157]
	v_add_f64 v[158:159], v[240:241], v[158:159]
	;; [unrolled: 1-line block ×4, first 2 shown]
	v_mul_f64 v[144:145], v[189:190], s[0:1]
	v_mul_f64 v[166:167], v[150:151], s[4:5]
	v_add_f64 v[181:182], v[218:219], v[181:182]
	v_add_f64 v[214:215], v[220:221], v[214:215]
	;; [unrolled: 1-line block ×4, first 2 shown]
	v_fma_f64 v[191:192], v[210:211], s[20:21], -v[204:205]
	v_fma_f64 v[204:205], v[148:149], s[22:23], v[216:217]
	v_mul_f64 v[206:207], v[189:190], s[42:43]
	v_mul_f64 v[216:217], v[150:151], s[40:41]
	v_fma_f64 v[218:219], v[210:211], s[4:5], v[144:145]
	v_fma_f64 v[220:221], v[148:149], s[6:7], v[166:167]
	v_fma_f64 v[144:145], v[210:211], s[4:5], -v[144:145]
	v_fma_f64 v[166:167], v[148:149], s[0:1], v[166:167]
	v_add_f64 v[156:157], v[230:231], v[156:157]
	v_add_f64 v[158:159], v[232:233], v[158:159]
	v_add_f64 v[191:192], v[191:192], v[193:194]
	v_add_f64 v[193:194], v[204:205], v[195:196]
	v_fma_f64 v[195:196], v[210:211], s[40:41], v[206:207]
	v_fma_f64 v[204:205], v[148:149], s[38:39], v[216:217]
	v_add_f64 v[144:145], v[144:145], v[174:175]
	v_add_f64 v[166:167], v[166:167], v[177:178]
	v_mul_f64 v[174:175], v[189:190], s[18:19]
	v_mul_f64 v[150:151], v[150:151], s[14:15]
	v_add_f64 v[177:178], v[154:155], -v[162:163]
	v_add_f64 v[154:155], v[154:155], v[162:163]
	v_add_f64 v[156:157], v[195:196], v[156:157]
	;; [unrolled: 1-line block ×3, first 2 shown]
	v_fma_f64 v[162:163], v[210:211], s[40:41], -v[206:207]
	v_fma_f64 v[189:190], v[148:149], s[42:43], v[216:217]
	v_fma_f64 v[195:196], v[210:211], s[14:15], v[174:175]
	;; [unrolled: 1-line block ×3, first 2 shown]
	v_add_f64 v[206:207], v[152:153], v[160:161]
	v_add_f64 v[152:153], v[152:153], -v[160:161]
	v_mul_f64 v[160:161], v[177:178], s[30:31]
	v_mul_f64 v[216:217], v[154:155], s[34:35]
	v_fma_f64 v[174:175], v[210:211], s[14:15], -v[174:175]
	v_fma_f64 v[148:149], v[148:149], s[18:19], v[150:151]
	v_add_f64 v[146:147], v[162:163], v[146:147]
	v_add_f64 v[150:151], v[189:190], v[170:171]
	;; [unrolled: 1-line block ×4, first 2 shown]
	v_fma_f64 v[179:180], v[206:207], s[34:35], v[160:161]
	v_fma_f64 v[189:190], v[152:153], s[36:37], v[216:217]
	v_add_f64 v[136:137], v[174:175], v[136:137]
	v_add_f64 v[138:139], v[148:149], v[138:139]
	v_mul_f64 v[148:149], v[177:178], s[6:7]
	v_mul_f64 v[174:175], v[154:155], s[4:5]
	v_fma_f64 v[160:161], v[206:207], s[34:35], -v[160:161]
	v_fma_f64 v[195:196], v[152:153], s[30:31], v[216:217]
	v_add_f64 v[179:180], v[179:180], v[183:184]
	v_add_f64 v[183:184], v[189:190], v[185:186]
	v_mul_f64 v[185:186], v[177:178], s[12:13]
	v_mul_f64 v[189:190], v[154:155], s[14:15]
	v_fma_f64 v[197:198], v[206:207], s[4:5], v[148:149]
	v_fma_f64 v[204:205], v[152:153], s[0:1], v[174:175]
	v_add_f64 v[160:161], v[160:161], v[164:165]
	v_add_f64 v[164:165], v[195:196], v[168:169]
	v_fma_f64 v[148:149], v[206:207], s[4:5], -v[148:149]
	v_fma_f64 v[168:169], v[152:153], s[6:7], v[174:175]
	v_fma_f64 v[174:175], v[206:207], s[14:15], v[185:186]
	;; [unrolled: 1-line block ×3, first 2 shown]
	v_add_f64 v[181:182], v[197:198], v[181:182]
	v_add_f64 v[197:198], v[204:205], v[214:215]
	v_mul_f64 v[204:205], v[177:178], s[42:43]
	v_mul_f64 v[210:211], v[154:155], s[40:41]
	v_add_f64 v[212:213], v[220:221], v[212:213]
	v_add_f64 v[148:149], v[148:149], v[140:141]
	;; [unrolled: 1-line block ×5, first 2 shown]
	v_fma_f64 v[140:141], v[206:207], s[14:15], -v[185:186]
	v_fma_f64 v[142:143], v[152:153], s[12:13], v[189:190]
	v_fma_f64 v[185:186], v[206:207], s[40:41], v[204:205]
	;; [unrolled: 1-line block ×3, first 2 shown]
	v_mul_f64 v[189:190], v[177:178], s[22:23]
	v_mul_f64 v[195:196], v[154:155], s[20:21]
	v_fma_f64 v[204:205], v[206:207], s[40:41], -v[204:205]
	v_fma_f64 v[210:211], v[152:153], s[42:43], v[210:211]
	v_mul_f64 v[154:155], v[154:155], s[26:27]
	v_add_f64 v[208:209], v[218:219], v[208:209]
	v_add_f64 v[191:192], v[140:141], v[191:192]
	;; [unrolled: 1-line block ×4, first 2 shown]
	v_fma_f64 v[140:141], v[206:207], s[20:21], v[189:190]
	v_fma_f64 v[142:143], v[152:153], s[24:25], v[195:196]
	v_add_f64 v[204:205], v[204:205], v[144:145]
	v_add_f64 v[166:167], v[210:211], v[166:167]
	v_fma_f64 v[144:145], v[206:207], s[20:21], -v[189:190]
	v_fma_f64 v[189:190], v[152:153], s[22:23], v[195:196]
	v_mul_f64 v[177:178], v[177:178], s[16:17]
	v_add_f64 v[210:211], v[130:131], -v[134:135]
	v_add_f64 v[212:213], v[130:131], v[134:135]
	v_fma_f64 v[134:135], v[152:153], s[28:29], v[154:155]
	v_add_f64 v[185:186], v[185:186], v[208:209]
	v_add_f64 v[195:196], v[140:141], v[156:157]
	;; [unrolled: 1-line block ×4, first 2 shown]
	v_fma_f64 v[130:131], v[206:207], s[26:27], v[177:178]
	v_add_f64 v[150:151], v[128:129], v[132:133]
	v_add_f64 v[216:217], v[128:129], -v[132:133]
	v_mul_f64 v[128:129], v[210:211], s[38:39]
	v_mul_f64 v[132:133], v[212:213], s[40:41]
	v_fma_f64 v[140:141], v[206:207], s[26:27], -v[177:178]
	v_fma_f64 v[142:143], v[152:153], s[16:17], v[154:155]
	v_add_f64 v[206:207], v[134:135], v[170:171]
	v_mul_f64 v[134:135], v[210:211], s[22:23]
	v_add_f64 v[214:215], v[144:145], v[146:147]
	v_add_f64 v[177:178], v[130:131], v[162:163]
	v_mul_f64 v[152:153], v[212:213], s[20:21]
	v_fma_f64 v[130:131], v[150:151], s[40:41], v[128:129]
	v_fma_f64 v[144:145], v[216:217], s[42:43], v[132:133]
	v_add_f64 v[218:219], v[140:141], v[136:137]
	v_add_f64 v[220:221], v[142:143], v[138:139]
	v_fma_f64 v[136:137], v[150:151], s[40:41], -v[128:129]
	v_fma_f64 v[132:133], v[216:217], s[38:39], v[132:133]
	v_fma_f64 v[138:139], v[150:151], s[20:21], v[134:135]
	v_mul_f64 v[154:155], v[210:211], s[30:31]
	v_mul_f64 v[156:157], v[212:213], s[34:35]
	v_fma_f64 v[142:143], v[216:217], s[24:25], v[152:153]
	v_add_f64 v[128:129], v[130:131], v[179:180]
	v_add_f64 v[130:131], v[144:145], v[183:184]
	;; [unrolled: 1-line block ×5, first 2 shown]
	v_fma_f64 v[132:133], v[150:151], s[20:21], -v[134:135]
	v_fma_f64 v[134:135], v[216:217], s[22:23], v[152:153]
	v_fma_f64 v[136:137], v[150:151], s[34:35], v[154:155]
	;; [unrolled: 1-line block ×3, first 2 shown]
	v_mul_f64 v[152:153], v[210:211], s[18:19]
	v_mul_f64 v[160:161], v[212:213], s[14:15]
	v_fma_f64 v[154:155], v[150:151], s[34:35], -v[154:155]
	v_fma_f64 v[162:163], v[216:217], s[30:31], v[156:157]
	v_add_f64 v[156:157], v[132:133], v[148:149]
	v_add_f64 v[158:159], v[134:135], v[168:169]
	;; [unrolled: 1-line block ×4, first 2 shown]
	v_fma_f64 v[136:137], v[150:151], s[14:15], v[152:153]
	v_fma_f64 v[148:149], v[150:151], s[14:15], -v[152:153]
	v_add_f64 v[168:169], v[154:155], v[191:192]
	v_fma_f64 v[152:153], v[216:217], s[18:19], v[160:161]
	v_mul_f64 v[154:155], v[210:211], s[16:17]
	v_mul_f64 v[164:165], v[212:213], s[26:27]
	;; [unrolled: 1-line block ×4, first 2 shown]
	v_fma_f64 v[138:139], v[216:217], s[12:13], v[160:161]
	v_add_f64 v[170:171], v[162:163], v[193:194]
	v_add_f64 v[160:161], v[148:149], v[204:205]
	;; [unrolled: 1-line block ×3, first 2 shown]
	v_fma_f64 v[148:149], v[150:151], s[26:27], v[154:155]
	v_fma_f64 v[152:153], v[216:217], s[28:29], v[164:165]
	v_fma_f64 v[154:155], v[150:151], s[26:27], -v[154:155]
	v_fma_f64 v[164:165], v[216:217], s[16:17], v[164:165]
	v_fma_f64 v[166:167], v[150:151], s[4:5], v[172:173]
	;; [unrolled: 1-line block ×3, first 2 shown]
	v_fma_f64 v[181:182], v[150:151], s[4:5], -v[172:173]
	v_fma_f64 v[183:184], v[216:217], s[6:7], v[174:175]
	v_add_f64 v[142:143], v[142:143], v[197:198]
	v_add_f64 v[136:137], v[136:137], v[185:186]
	;; [unrolled: 1-line block ×11, first 2 shown]
	ds_write_b128 v203, v[124:127]
	ds_write_b128 v203, v[128:131] offset:16
	ds_write_b128 v203, v[140:143] offset:32
	;; [unrolled: 1-line block ×12, first 2 shown]
	s_waitcnt lgkmcnt(0)
	; wave barrier
	s_waitcnt lgkmcnt(0)
	s_and_saveexec_b64 s[0:1], vcc
	s_cbranch_execz .LBB0_7
; %bb.6:
	ds_read_b128 v[124:127], v201
	ds_read_b128 v[128:131], v200 offset:208
	ds_read_b128 v[140:143], v200 offset:416
	;; [unrolled: 1-line block ×15, first 2 shown]
.LBB0_7:
	s_or_b64 exec, exec, s[0:1]
	s_and_saveexec_b64 s[0:1], vcc
	s_cbranch_execz .LBB0_9
; %bb.8:
	s_waitcnt lgkmcnt(13)
	v_mul_f64 v[177:178], v[70:71], v[140:141]
	s_waitcnt lgkmcnt(5)
	v_mul_f64 v[179:180], v[98:99], v[168:169]
	v_mul_f64 v[181:182], v[94:95], v[174:175]
	s_waitcnt lgkmcnt(1)
	v_mul_f64 v[183:184], v[110:111], v[122:123]
	v_mul_f64 v[185:186], v[66:67], v[152:153]
	;; [unrolled: 1-line block ×5, first 2 shown]
	v_fma_f64 v[177:178], v[68:69], v[142:143], -v[177:178]
	v_fma_f64 v[179:180], v[96:97], v[170:171], -v[179:180]
	v_fma_f64 v[181:182], v[92:93], v[172:173], v[181:182]
	v_fma_f64 v[183:184], v[108:109], v[120:121], v[183:184]
	v_fma_f64 v[185:186], v[64:65], v[154:155], -v[185:186]
	v_fma_f64 v[187:188], v[52:53], v[136:137], v[187:188]
	v_fma_f64 v[189:190], v[80:81], v[144:145], v[189:190]
	v_mul_f64 v[110:111], v[110:111], v[120:121]
	v_mul_f64 v[191:192], v[78:79], v[166:167]
	v_add_f64 v[172:173], v[177:178], -v[179:180]
	s_waitcnt lgkmcnt(0)
	v_mul_f64 v[193:194], v[106:107], v[118:119]
	v_add_f64 v[179:180], v[181:182], -v[183:184]
	v_add_f64 v[120:121], v[126:127], -v[185:186]
	v_mul_f64 v[185:186], v[62:63], v[132:133]
	v_add_f64 v[183:184], v[187:188], -v[189:190]
	v_mul_f64 v[189:190], v[90:91], v[156:157]
	v_fma_f64 v[92:93], v[92:93], v[174:175], -v[94:95]
	v_fma_f64 v[94:95], v[108:109], v[122:123], -v[110:111]
	v_mul_f64 v[70:71], v[70:71], v[142:143]
	v_mul_f64 v[98:99], v[98:99], v[170:171]
	v_fma_f64 v[122:123], v[76:77], v[164:165], v[191:192]
	v_fma_f64 v[108:109], v[60:61], v[134:135], -v[185:186]
	v_fma_f64 v[142:143], v[104:105], v[116:117], v[193:194]
	v_fma_f64 v[110:111], v[88:89], v[158:159], -v[189:190]
	v_mul_f64 v[170:171], v[58:59], v[128:129]
	v_mul_f64 v[174:175], v[86:87], v[160:161]
	;; [unrolled: 1-line block ×4, first 2 shown]
	v_fma_f64 v[68:69], v[68:69], v[140:141], v[70:71]
	v_fma_f64 v[70:71], v[96:97], v[168:169], v[98:99]
	v_add_f64 v[98:99], v[122:123], -v[142:143]
	v_add_f64 v[96:97], v[108:109], -v[110:111]
	v_fma_f64 v[110:111], v[56:57], v[130:131], -v[170:171]
	v_fma_f64 v[140:141], v[84:85], v[162:163], -v[174:175]
	v_fma_f64 v[142:143], v[72:73], v[148:149], v[185:186]
	v_fma_f64 v[168:169], v[100:101], v[112:113], v[189:190]
	v_mul_f64 v[78:79], v[78:79], v[164:165]
	v_mul_f64 v[106:107], v[106:107], v[116:117]
	v_mul_f64 v[62:63], v[62:63], v[134:135]
	v_mul_f64 v[90:91], v[90:91], v[158:159]
	v_mul_f64 v[74:75], v[74:75], v[148:149]
	v_mul_f64 v[102:103], v[102:103], v[112:113]
	v_mul_f64 v[58:59], v[58:59], v[130:131]
	v_mul_f64 v[86:87], v[86:87], v[162:163]
	v_add_f64 v[140:141], v[110:111], -v[140:141]
	v_add_f64 v[168:169], v[142:143], -v[168:169]
	v_fma_f64 v[76:77], v[76:77], v[166:167], -v[78:79]
	v_fma_f64 v[78:79], v[104:105], v[118:119], -v[106:107]
	v_fma_f64 v[60:61], v[60:61], v[132:133], v[62:63]
	v_fma_f64 v[62:63], v[88:89], v[156:157], v[90:91]
	v_fma_f64 v[72:73], v[72:73], v[150:151], -v[74:75]
	v_fma_f64 v[74:75], v[100:101], v[114:115], -v[102:103]
	v_fma_f64 v[56:57], v[56:57], v[128:129], v[58:59]
	v_fma_f64 v[58:59], v[84:85], v[160:161], v[86:87]
	v_add_f64 v[170:171], v[172:173], -v[179:180]
	v_add_f64 v[174:175], v[120:121], -v[183:184]
	;; [unrolled: 1-line block ×5, first 2 shown]
	v_mul_f64 v[54:55], v[54:55], v[136:137]
	v_mul_f64 v[82:83], v[82:83], v[144:145]
	v_mul_f64 v[66:67], v[66:67], v[154:155]
	v_add_f64 v[84:85], v[140:141], -v[168:169]
	v_add_f64 v[78:79], v[76:77], -v[78:79]
	;; [unrolled: 1-line block ×5, first 2 shown]
	s_mov_b32 s4, 0x667f3bcd
	s_mov_b32 s5, 0x3fe6a09e
	v_fma_f64 v[52:53], v[52:53], v[138:139], -v[54:55]
	v_fma_f64 v[54:55], v[80:81], v[146:147], -v[82:83]
	v_fma_f64 v[58:59], v[64:65], v[152:153], v[66:67]
	v_fma_f64 v[64:65], v[170:171], s[4:5], v[174:175]
	v_add_f64 v[66:67], v[94:95], v[70:71]
	v_fma_f64 v[80:81], v[185:186], s[4:5], v[84:85]
	v_add_f64 v[82:83], v[78:79], v[62:63]
	v_add_f64 v[88:89], v[74:75], v[86:87]
	s_mov_b32 s7, 0xbfe6a09e
	s_mov_b32 s6, s4
	v_add_f64 v[54:55], v[52:53], -v[54:55]
	v_add_f64 v[90:91], v[124:125], -v[58:59]
	v_fma_f64 v[64:65], v[66:67], s[6:7], v[64:65]
	s_mov_b32 s12, 0xcf328d46
	v_fma_f64 v[80:81], v[82:83], s[6:7], v[80:81]
	v_fma_f64 v[58:59], v[82:83], s[4:5], v[88:89]
	s_mov_b32 s13, 0x3fed906b
	v_fma_f64 v[106:107], v[126:127], 2.0, -v[120:121]
	v_fma_f64 v[52:53], v[52:53], 2.0, -v[54:55]
	;; [unrolled: 1-line block ×5, first 2 shown]
	v_fma_f64 v[102:103], v[80:81], s[12:13], v[64:65]
	v_fma_f64 v[104:105], v[185:186], s[4:5], v[58:59]
	v_fma_f64 v[72:73], v[72:73], 2.0, -v[74:75]
	v_fma_f64 v[60:61], v[60:61], 2.0, -v[62:63]
	;; [unrolled: 1-line block ×3, first 2 shown]
	s_mov_b32 s14, 0xa6aea964
	s_mov_b32 s15, 0xbfd87de2
	v_add_f64 v[100:101], v[90:91], v[54:55]
	v_add_f64 v[98:99], v[106:107], -v[52:53]
	v_fma_f64 v[54:55], v[104:105], s[14:15], v[102:103]
	v_add_f64 v[52:53], v[68:69], -v[112:113]
	v_add_f64 v[72:73], v[110:111], -v[72:73]
	;; [unrolled: 1-line block ×3, first 2 shown]
	v_fma_f64 v[102:103], v[108:109], 2.0, -v[96:97]
	v_fma_f64 v[76:77], v[76:77], 2.0, -v[78:79]
	;; [unrolled: 1-line block ×12, first 2 shown]
	v_fma_f64 v[58:59], v[66:67], s[4:5], v[100:101]
	v_add_f64 v[112:113], v[98:99], -v[52:53]
	v_add_f64 v[114:115], v[72:73], -v[74:75]
	;; [unrolled: 1-line block ×4, first 2 shown]
	v_fma_f64 v[128:129], v[120:121], s[6:7], v[118:119]
	v_fma_f64 v[66:67], v[70:71], 2.0, -v[66:67]
	v_fma_f64 v[70:71], v[96:97], s[6:7], v[122:123]
	v_fma_f64 v[62:63], v[62:63], 2.0, -v[82:83]
	v_fma_f64 v[86:87], v[86:87], 2.0, -v[88:89]
	v_add_f64 v[92:93], v[126:127], -v[92:93]
	v_add_f64 v[124:125], v[94:95], -v[124:125]
	v_fma_f64 v[90:91], v[90:91], 2.0, -v[100:101]
	v_fma_f64 v[116:117], v[170:171], s[4:5], v[58:59]
	v_fma_f64 v[82:83], v[114:115], s[4:5], v[112:113]
	v_add_f64 v[130:131], v[76:77], v[108:109]
	v_fma_f64 v[128:129], v[66:67], s[6:7], v[128:129]
	v_fma_f64 v[132:133], v[62:63], s[6:7], v[70:71]
	;; [unrolled: 1-line block ×3, first 2 shown]
	v_fma_f64 v[106:107], v[106:107], 2.0, -v[98:99]
	v_fma_f64 v[126:127], v[126:127], 2.0, -v[92:93]
	;; [unrolled: 1-line block ×4, first 2 shown]
	v_add_f64 v[134:135], v[124:125], v[92:93]
	v_fma_f64 v[66:67], v[66:67], s[6:7], v[90:91]
	s_mov_b32 s17, 0x3fd87de2
	s_mov_b32 s16, s14
	v_fma_f64 v[78:79], v[104:105], s[12:13], v[116:117]
	v_fma_f64 v[62:63], v[130:131], s[6:7], v[82:83]
	;; [unrolled: 1-line block ×4, first 2 shown]
	v_add_f64 v[96:97], v[106:107], -v[126:127]
	v_add_f64 v[126:127], v[56:57], -v[60:61]
	v_fma_f64 v[94:95], v[94:95], 2.0, -v[124:125]
	v_fma_f64 v[52:53], v[68:69], 2.0, -v[52:53]
	;; [unrolled: 1-line block ×4, first 2 shown]
	v_fma_f64 v[68:69], v[130:131], s[4:5], v[134:135]
	v_fma_f64 v[120:121], v[120:121], s[4:5], v[66:67]
	s_mov_b32 s19, 0xbfed906b
	s_mov_b32 s18, s12
	v_fma_f64 v[66:67], v[92:93], s[18:19], v[74:75]
	v_add_f64 v[70:71], v[96:97], -v[126:127]
	v_add_f64 v[136:137], v[94:95], -v[52:53]
	v_add_f64 v[102:103], v[110:111], -v[60:61]
	v_fma_f64 v[84:85], v[84:85], 2.0, -v[80:81]
	v_fma_f64 v[52:53], v[80:81], s[16:17], v[78:79]
	v_fma_f64 v[74:75], v[112:113], 2.0, -v[62:63]
	v_fma_f64 v[60:61], v[114:115], s[4:5], v[68:69]
	v_fma_f64 v[80:81], v[98:99], 2.0, -v[112:113]
	v_fma_f64 v[72:73], v[72:73], 2.0, -v[114:115]
	;; [unrolled: 1-line block ×4, first 2 shown]
	v_fma_f64 v[76:77], v[92:93], s[16:17], v[120:121]
	v_fma_f64 v[88:89], v[88:89], 2.0, -v[104:105]
	v_fma_f64 v[92:93], v[86:87], 2.0, -v[92:93]
	;; [unrolled: 1-line block ×8, first 2 shown]
	v_fma_f64 v[90:91], v[72:73], s[6:7], v[80:81]
	v_fma_f64 v[108:109], v[114:115], s[18:19], v[112:113]
	v_fma_f64 v[122:123], v[106:107], 2.0, -v[96:97]
	v_fma_f64 v[96:97], v[110:111], 2.0, -v[102:103]
	;; [unrolled: 1-line block ×4, first 2 shown]
	v_add_f64 v[68:69], v[136:137], v[102:103]
	v_fma_f64 v[102:103], v[92:93], s[18:19], v[104:105]
	v_fma_f64 v[58:59], v[64:65], 2.0, -v[54:55]
	v_fma_f64 v[64:65], v[132:133], s[12:13], v[76:77]
	v_fma_f64 v[76:77], v[84:85], s[14:15], v[138:139]
	;; [unrolled: 1-line block ×6, first 2 shown]
	v_add_f64 v[98:99], v[122:123], -v[96:97]
	v_add_f64 v[96:97], v[124:125], -v[56:57]
	v_fma_f64 v[92:93], v[114:115], s[16:17], v[102:103]
	v_fma_f64 v[86:87], v[88:89], s[18:19], v[76:77]
	;; [unrolled: 1-line block ×4, first 2 shown]
	v_fma_f64 v[106:107], v[80:81], 2.0, -v[90:91]
	v_fma_f64 v[110:111], v[112:113], 2.0, -v[94:95]
	v_fma_f64 v[114:115], v[122:123], 2.0, -v[98:99]
	v_fma_f64 v[112:113], v[124:125], 2.0, -v[96:97]
	v_fma_f64 v[108:109], v[104:105], 2.0, -v[92:93]
	v_fma_f64 v[102:103], v[138:139], 2.0, -v[86:87]
	v_fma_f64 v[104:105], v[118:119], 2.0, -v[88:89]
	v_fma_f64 v[100:101], v[100:101], 2.0, -v[84:85]
	v_fma_f64 v[80:81], v[136:137], 2.0, -v[68:69]
	v_fma_f64 v[78:79], v[128:129], 2.0, -v[66:67]
	v_fma_f64 v[76:77], v[120:121], 2.0, -v[64:65]
	v_fma_f64 v[72:73], v[134:135], 2.0, -v[60:61]
	v_fma_f64 v[56:57], v[116:117], 2.0, -v[52:53]
	ds_write_b128 v201, v[112:115]
	ds_write_b128 v200, v[108:111] offset:208
	ds_write_b128 v200, v[104:107] offset:416
	;; [unrolled: 1-line block ×15, first 2 shown]
.LBB0_9:
	s_or_b64 exec, exec, s[0:1]
	s_waitcnt lgkmcnt(0)
	; wave barrier
	s_waitcnt lgkmcnt(0)
	ds_read_b128 v[52:55], v201
	ds_read_b128 v[56:59], v200 offset:256
	v_mad_u64_u32 v[62:63], s[0:1], s10, v176, 0
	v_mad_u64_u32 v[64:65], s[4:5], s8, v199, 0
	s_waitcnt lgkmcnt(1)
	v_mul_f64 v[60:61], v[50:51], v[54:55]
	v_mul_f64 v[50:51], v[50:51], v[52:53]
	s_mov_b32 s0, 0x13b13b14
	s_mov_b32 s1, 0x3f73b13b
	v_fma_f64 v[52:53], v[48:49], v[52:53], v[60:61]
	v_fma_f64 v[50:51], v[48:49], v[54:55], -v[50:51]
	v_mad_u64_u32 v[48:49], s[4:5], s11, v176, v[63:64]
	s_waitcnt lgkmcnt(0)
	v_mul_f64 v[60:61], v[26:27], v[58:59]
	v_mul_f64 v[26:27], v[26:27], v[56:57]
	v_mov_b32_e32 v49, v65
	v_mov_b32_e32 v63, v48
	v_mad_u64_u32 v[54:55], s[4:5], s9, v199, v[49:50]
	v_mul_f64 v[48:49], v[52:53], s[0:1]
	v_lshlrev_b64 v[52:53], 4, v[62:63]
	v_mov_b32_e32 v65, v54
	v_mov_b32_e32 v54, s3
	v_add_co_u32_e32 v66, vcc, s2, v52
	v_mul_f64 v[50:51], v[50:51], s[0:1]
	v_addc_co_u32_e32 v67, vcc, v54, v53, vcc
	ds_read_b128 v[52:55], v200 offset:512
	v_fma_f64 v[56:57], v[24:25], v[56:57], v[60:61]
	v_fma_f64 v[58:59], v[24:25], v[58:59], -v[26:27]
	ds_read_b128 v[24:27], v200 offset:768
	v_lshlrev_b64 v[62:63], 4, v[64:65]
	s_waitcnt lgkmcnt(1)
	v_mul_f64 v[60:61], v[42:43], v[54:55]
	v_mul_f64 v[42:43], v[42:43], v[52:53]
	v_add_co_u32_e32 v62, vcc, v66, v62
	v_addc_co_u32_e32 v63, vcc, v67, v63, vcc
	global_store_dwordx4 v[62:63], v[48:51], off
	s_lshl_b64 s[2:3], s[8:9], 8
	v_mul_f64 v[48:49], v[56:57], s[0:1]
	v_mul_f64 v[50:51], v[58:59], s[0:1]
	v_fma_f64 v[52:53], v[40:41], v[52:53], v[60:61]
	v_fma_f64 v[42:43], v[40:41], v[54:55], -v[42:43]
	s_waitcnt lgkmcnt(0)
	v_mul_f64 v[54:55], v[30:31], v[26:27]
	v_mul_f64 v[30:31], v[30:31], v[24:25]
	v_mov_b32_e32 v58, s3
	v_add_co_u32_e32 v56, vcc, s2, v62
	v_addc_co_u32_e32 v57, vcc, v63, v58, vcc
	global_store_dwordx4 v[56:57], v[48:51], off
	ds_read_b128 v[48:51], v200 offset:1024
	v_mul_f64 v[40:41], v[52:53], s[0:1]
	v_mul_f64 v[42:43], v[42:43], s[0:1]
	v_fma_f64 v[52:53], v[28:29], v[24:25], v[54:55]
	v_fma_f64 v[30:31], v[28:29], v[26:27], -v[30:31]
	ds_read_b128 v[24:27], v200 offset:1280
	s_waitcnt lgkmcnt(1)
	v_mul_f64 v[54:55], v[46:47], v[50:51]
	v_mul_f64 v[46:47], v[46:47], v[48:49]
	v_add_co_u32_e32 v56, vcc, s2, v56
	v_addc_co_u32_e32 v57, vcc, v57, v58, vcc
	global_store_dwordx4 v[56:57], v[40:43], off
	v_mul_f64 v[28:29], v[52:53], s[0:1]
	v_mul_f64 v[30:31], v[30:31], s[0:1]
	v_fma_f64 v[40:41], v[44:45], v[48:49], v[54:55]
	v_fma_f64 v[44:45], v[44:45], v[50:51], -v[46:47]
	s_waitcnt lgkmcnt(0)
	v_mul_f64 v[46:47], v[22:23], v[26:27]
	v_mul_f64 v[22:23], v[22:23], v[24:25]
	v_add_co_u32_e32 v48, vcc, s2, v56
	v_addc_co_u32_e32 v49, vcc, v57, v58, vcc
	global_store_dwordx4 v[48:49], v[28:31], off
	v_fma_f64 v[24:25], v[20:21], v[24:25], v[46:47]
	v_mul_f64 v[28:29], v[40:41], s[0:1]
	ds_read_b128 v[40:43], v200 offset:1536
	v_mul_f64 v[30:31], v[44:45], s[0:1]
	v_fma_f64 v[26:27], v[20:21], v[26:27], -v[22:23]
	ds_read_b128 v[20:23], v200 offset:1792
	v_add_co_u32_e32 v46, vcc, s2, v48
	s_waitcnt lgkmcnt(1)
	v_mul_f64 v[44:45], v[38:39], v[42:43]
	v_mul_f64 v[38:39], v[38:39], v[40:41]
	v_addc_co_u32_e32 v47, vcc, v49, v58, vcc
	global_store_dwordx4 v[46:47], v[28:31], off
	v_mul_f64 v[24:25], v[24:25], s[0:1]
	v_mul_f64 v[26:27], v[26:27], s[0:1]
	v_fma_f64 v[28:29], v[36:37], v[40:41], v[44:45]
	v_fma_f64 v[36:37], v[36:37], v[42:43], -v[38:39]
	s_waitcnt lgkmcnt(0)
	v_mul_f64 v[38:39], v[14:15], v[22:23]
	v_mul_f64 v[14:15], v[14:15], v[20:21]
	v_add_co_u32_e32 v40, vcc, s2, v46
	v_addc_co_u32_e32 v41, vcc, v47, v58, vcc
	global_store_dwordx4 v[40:41], v[24:27], off
	v_fma_f64 v[20:21], v[12:13], v[20:21], v[38:39]
	v_mul_f64 v[24:25], v[28:29], s[0:1]
	ds_read_b128 v[28:31], v200 offset:2048
	v_mul_f64 v[26:27], v[36:37], s[0:1]
	v_fma_f64 v[22:23], v[12:13], v[22:23], -v[14:15]
	ds_read_b128 v[12:15], v200 offset:2304
	v_add_co_u32_e32 v38, vcc, s2, v40
	s_waitcnt lgkmcnt(1)
	v_mul_f64 v[36:37], v[34:35], v[30:31]
	v_mul_f64 v[34:35], v[34:35], v[28:29]
	v_addc_co_u32_e32 v39, vcc, v41, v58, vcc
	global_store_dwordx4 v[38:39], v[24:27], off
	v_mul_f64 v[20:21], v[20:21], s[0:1]
	v_mul_f64 v[22:23], v[22:23], s[0:1]
	v_fma_f64 v[24:25], v[32:33], v[28:29], v[36:37]
	v_fma_f64 v[28:29], v[32:33], v[30:31], -v[34:35]
	s_waitcnt lgkmcnt(0)
	v_mul_f64 v[30:31], v[6:7], v[14:15]
	v_mul_f64 v[6:7], v[6:7], v[12:13]
	v_add_co_u32_e32 v32, vcc, s2, v38
	v_addc_co_u32_e32 v33, vcc, v39, v58, vcc
	global_store_dwordx4 v[32:33], v[20:23], off
	v_add_co_u32_e32 v32, vcc, s2, v32
	v_mul_f64 v[20:21], v[24:25], s[0:1]
	ds_read_b128 v[24:27], v200 offset:2560
	v_mul_f64 v[22:23], v[28:29], s[0:1]
	v_fma_f64 v[12:13], v[4:5], v[12:13], v[30:31]
	v_fma_f64 v[14:15], v[4:5], v[14:15], -v[6:7]
	ds_read_b128 v[4:7], v200 offset:2816
	s_waitcnt lgkmcnt(1)
	v_mul_f64 v[28:29], v[10:11], v[26:27]
	v_mul_f64 v[30:31], v[10:11], v[24:25]
	v_addc_co_u32_e32 v33, vcc, v33, v58, vcc
	global_store_dwordx4 v[32:33], v[20:23], off
	ds_read_b128 v[20:23], v200 offset:3072
	v_mul_f64 v[10:11], v[12:13], s[0:1]
	v_mul_f64 v[12:13], v[14:15], s[0:1]
	v_fma_f64 v[14:15], v[8:9], v[24:25], v[28:29]
	v_fma_f64 v[24:25], v[8:9], v[26:27], -v[30:31]
	s_waitcnt lgkmcnt(1)
	v_mul_f64 v[26:27], v[2:3], v[6:7]
	v_mul_f64 v[2:3], v[2:3], v[4:5]
	s_waitcnt lgkmcnt(0)
	v_mul_f64 v[28:29], v[18:19], v[22:23]
	v_mul_f64 v[18:19], v[18:19], v[20:21]
	v_add_co_u32_e32 v30, vcc, s2, v32
	v_addc_co_u32_e32 v31, vcc, v33, v58, vcc
	v_fma_f64 v[4:5], v[0:1], v[4:5], v[26:27]
	v_fma_f64 v[2:3], v[0:1], v[6:7], -v[2:3]
	global_store_dwordx4 v[30:31], v[10:13], off
	v_fma_f64 v[6:7], v[16:17], v[20:21], v[28:29]
	v_fma_f64 v[12:13], v[16:17], v[22:23], -v[18:19]
	v_mul_f64 v[8:9], v[14:15], s[0:1]
	v_mul_f64 v[10:11], v[24:25], s[0:1]
	v_add_co_u32_e32 v14, vcc, s2, v30
	v_mul_f64 v[0:1], v[4:5], s[0:1]
	v_mul_f64 v[2:3], v[2:3], s[0:1]
	;; [unrolled: 1-line block ×4, first 2 shown]
	v_addc_co_u32_e32 v15, vcc, v31, v58, vcc
	global_store_dwordx4 v[14:15], v[8:11], off
	s_nop 0
	v_add_co_u32_e32 v8, vcc, s2, v14
	v_addc_co_u32_e32 v9, vcc, v15, v58, vcc
	global_store_dwordx4 v[8:9], v[0:3], off
	s_nop 0
	v_add_co_u32_e32 v0, vcc, s2, v8
	v_addc_co_u32_e32 v1, vcc, v9, v58, vcc
	global_store_dwordx4 v[0:1], v[4:7], off
.LBB0_10:
	s_endpgm
	.section	.rodata,"a",@progbits
	.p2align	6, 0x0
	.amdhsa_kernel bluestein_single_fwd_len208_dim1_dp_op_CI_CI
		.amdhsa_group_segment_fixed_size 13312
		.amdhsa_private_segment_fixed_size 0
		.amdhsa_kernarg_size 104
		.amdhsa_user_sgpr_count 6
		.amdhsa_user_sgpr_private_segment_buffer 1
		.amdhsa_user_sgpr_dispatch_ptr 0
		.amdhsa_user_sgpr_queue_ptr 0
		.amdhsa_user_sgpr_kernarg_segment_ptr 1
		.amdhsa_user_sgpr_dispatch_id 0
		.amdhsa_user_sgpr_flat_scratch_init 0
		.amdhsa_user_sgpr_private_segment_size 0
		.amdhsa_uses_dynamic_stack 0
		.amdhsa_system_sgpr_private_segment_wavefront_offset 0
		.amdhsa_system_sgpr_workgroup_id_x 1
		.amdhsa_system_sgpr_workgroup_id_y 0
		.amdhsa_system_sgpr_workgroup_id_z 0
		.amdhsa_system_sgpr_workgroup_info 0
		.amdhsa_system_vgpr_workitem_id 0
		.amdhsa_next_free_vgpr 252
		.amdhsa_next_free_sgpr 44
		.amdhsa_reserve_vcc 1
		.amdhsa_reserve_flat_scratch 0
		.amdhsa_float_round_mode_32 0
		.amdhsa_float_round_mode_16_64 0
		.amdhsa_float_denorm_mode_32 3
		.amdhsa_float_denorm_mode_16_64 3
		.amdhsa_dx10_clamp 1
		.amdhsa_ieee_mode 1
		.amdhsa_fp16_overflow 0
		.amdhsa_exception_fp_ieee_invalid_op 0
		.amdhsa_exception_fp_denorm_src 0
		.amdhsa_exception_fp_ieee_div_zero 0
		.amdhsa_exception_fp_ieee_overflow 0
		.amdhsa_exception_fp_ieee_underflow 0
		.amdhsa_exception_fp_ieee_inexact 0
		.amdhsa_exception_int_div_zero 0
	.end_amdhsa_kernel
	.text
.Lfunc_end0:
	.size	bluestein_single_fwd_len208_dim1_dp_op_CI_CI, .Lfunc_end0-bluestein_single_fwd_len208_dim1_dp_op_CI_CI
                                        ; -- End function
	.section	.AMDGPU.csdata,"",@progbits
; Kernel info:
; codeLenInByte = 14880
; NumSgprs: 48
; NumVgprs: 252
; ScratchSize: 0
; MemoryBound: 0
; FloatMode: 240
; IeeeMode: 1
; LDSByteSize: 13312 bytes/workgroup (compile time only)
; SGPRBlocks: 5
; VGPRBlocks: 62
; NumSGPRsForWavesPerEU: 48
; NumVGPRsForWavesPerEU: 252
; Occupancy: 1
; WaveLimiterHint : 1
; COMPUTE_PGM_RSRC2:SCRATCH_EN: 0
; COMPUTE_PGM_RSRC2:USER_SGPR: 6
; COMPUTE_PGM_RSRC2:TRAP_HANDLER: 0
; COMPUTE_PGM_RSRC2:TGID_X_EN: 1
; COMPUTE_PGM_RSRC2:TGID_Y_EN: 0
; COMPUTE_PGM_RSRC2:TGID_Z_EN: 0
; COMPUTE_PGM_RSRC2:TIDIG_COMP_CNT: 0
	.type	__hip_cuid_a10d0c1d2d7a1c5c,@object ; @__hip_cuid_a10d0c1d2d7a1c5c
	.section	.bss,"aw",@nobits
	.globl	__hip_cuid_a10d0c1d2d7a1c5c
__hip_cuid_a10d0c1d2d7a1c5c:
	.byte	0                               ; 0x0
	.size	__hip_cuid_a10d0c1d2d7a1c5c, 1

	.ident	"AMD clang version 19.0.0git (https://github.com/RadeonOpenCompute/llvm-project roc-6.4.0 25133 c7fe45cf4b819c5991fe208aaa96edf142730f1d)"
	.section	".note.GNU-stack","",@progbits
	.addrsig
	.addrsig_sym __hip_cuid_a10d0c1d2d7a1c5c
	.amdgpu_metadata
---
amdhsa.kernels:
  - .args:
      - .actual_access:  read_only
        .address_space:  global
        .offset:         0
        .size:           8
        .value_kind:     global_buffer
      - .actual_access:  read_only
        .address_space:  global
        .offset:         8
        .size:           8
        .value_kind:     global_buffer
      - .actual_access:  read_only
        .address_space:  global
        .offset:         16
        .size:           8
        .value_kind:     global_buffer
      - .actual_access:  read_only
        .address_space:  global
        .offset:         24
        .size:           8
        .value_kind:     global_buffer
      - .actual_access:  read_only
        .address_space:  global
        .offset:         32
        .size:           8
        .value_kind:     global_buffer
      - .offset:         40
        .size:           8
        .value_kind:     by_value
      - .address_space:  global
        .offset:         48
        .size:           8
        .value_kind:     global_buffer
      - .address_space:  global
        .offset:         56
        .size:           8
        .value_kind:     global_buffer
      - .address_space:  global
        .offset:         64
        .size:           8
        .value_kind:     global_buffer
      - .address_space:  global
        .offset:         72
        .size:           8
        .value_kind:     global_buffer
      - .offset:         80
        .size:           4
        .value_kind:     by_value
      - .address_space:  global
        .offset:         88
        .size:           8
        .value_kind:     global_buffer
      - .address_space:  global
        .offset:         96
        .size:           8
        .value_kind:     global_buffer
    .group_segment_fixed_size: 13312
    .kernarg_segment_align: 8
    .kernarg_segment_size: 104
    .language:       OpenCL C
    .language_version:
      - 2
      - 0
    .max_flat_workgroup_size: 64
    .name:           bluestein_single_fwd_len208_dim1_dp_op_CI_CI
    .private_segment_fixed_size: 0
    .sgpr_count:     48
    .sgpr_spill_count: 0
    .symbol:         bluestein_single_fwd_len208_dim1_dp_op_CI_CI.kd
    .uniform_work_group_size: 1
    .uses_dynamic_stack: false
    .vgpr_count:     252
    .vgpr_spill_count: 0
    .wavefront_size: 64
amdhsa.target:   amdgcn-amd-amdhsa--gfx906
amdhsa.version:
  - 1
  - 2
...

	.end_amdgpu_metadata
